;; amdgpu-corpus repo=pytorch/pytorch kind=compiled arch=gfx950 opt=O3
	.amdgcn_target "amdgcn-amd-amdhsa--gfx950"
	.amdhsa_code_object_version 6
	.section	.text._ZN2at6native12_GLOBAL__N_125multi_tensor_apply_kernelINS1_18TensorListMetadataILi4EEENS1_20TernaryOpListFunctorIdLi4ELi3ELi3EEEJNS0_11LerpFunctorIdEEEEEvT_T0_DpT1_,"axG",@progbits,_ZN2at6native12_GLOBAL__N_125multi_tensor_apply_kernelINS1_18TensorListMetadataILi4EEENS1_20TernaryOpListFunctorIdLi4ELi3ELi3EEEJNS0_11LerpFunctorIdEEEEEvT_T0_DpT1_,comdat
	.globl	_ZN2at6native12_GLOBAL__N_125multi_tensor_apply_kernelINS1_18TensorListMetadataILi4EEENS1_20TernaryOpListFunctorIdLi4ELi3ELi3EEEJNS0_11LerpFunctorIdEEEEEvT_T0_DpT1_ ; -- Begin function _ZN2at6native12_GLOBAL__N_125multi_tensor_apply_kernelINS1_18TensorListMetadataILi4EEENS1_20TernaryOpListFunctorIdLi4ELi3ELi3EEEJNS0_11LerpFunctorIdEEEEEvT_T0_DpT1_
	.p2align	8
	.type	_ZN2at6native12_GLOBAL__N_125multi_tensor_apply_kernelINS1_18TensorListMetadataILi4EEENS1_20TernaryOpListFunctorIdLi4ELi3ELi3EEEJNS0_11LerpFunctorIdEEEEEvT_T0_DpT1_,@function
_ZN2at6native12_GLOBAL__N_125multi_tensor_apply_kernelINS1_18TensorListMetadataILi4EEENS1_20TernaryOpListFunctorIdLi4ELi3ELi3EEEJNS0_11LerpFunctorIdEEEEEvT_T0_DpT1_: ; @_ZN2at6native12_GLOBAL__N_125multi_tensor_apply_kernelINS1_18TensorListMetadataILi4EEENS1_20TernaryOpListFunctorIdLi4ELi3ELi3EEEJNS0_11LerpFunctorIdEEEEEvT_T0_DpT1_
; %bb.0:
	v_mov_b32_e32 v1, s2
	global_load_ubyte v1, v1, s[0:1] offset:1440
	s_add_u32 s4, s0, s2
	s_mul_hi_u32 s7, s2, 3
	s_mul_i32 s2, s2, 3
	s_addc_u32 s8, s1, 0
	s_add_u32 s6, s4, s2
	s_addc_u32 s7, s8, s7
	s_load_dword s6, s[6:7], 0x6e0
	s_mov_b32 s3, 0
	s_mov_b32 s5, s3
	;; [unrolled: 1-line block ×3, first 2 shown]
	s_waitcnt lgkmcnt(0)
	s_ashr_i32 s7, s6, 31
	s_lshl_b64 s[8:9], s[6:7], 19
	s_waitcnt vmcnt(0)
	v_readfirstlane_b32 s2, v1
	s_lshl_b32 s2, s2, 3
	s_load_dwordx2 s[30:31], s[0:1], s2 offset:0x480
	s_load_dwordx2 s[14:15], s[0:1], s2 offset:0x0
	;; [unrolled: 1-line block ×5, first 2 shown]
	s_waitcnt lgkmcnt(0)
	s_add_u32 s12, s14, s8
	s_addc_u32 s13, s15, s9
	s_and_b32 s2, s12, 31
	s_add_u32 s22, s16, s8
	s_addc_u32 s23, s17, s9
	s_and_b32 s4, s22, 31
	s_cmp_lg_u64 s[4:5], 0
	s_cselect_b64 s[4:5], -1, 0
	s_add_u32 s24, s18, s8
	s_addc_u32 s25, s19, s9
	s_add_u32 s26, s20, s8
	s_addc_u32 s27, s21, s9
	s_or_b32 s10, s26, s24
	s_and_b32 s10, s10, 31
	s_cmp_lg_u32 s10, 0
	s_cselect_b64 s[10:11], -1, 0
	s_lshl_b64 s[6:7], s[6:7], 16
	s_or_b64 s[4:5], s[10:11], s[4:5]
	s_sub_u32 s10, s30, s6
	s_subb_u32 s11, s31, s7
	s_and_b32 s28, s30, 3
	s_or_b64 s[2:3], s[2:3], s[28:29]
	s_cmp_lg_u64 s[2:3], 0
	s_cselect_b64 s[2:3], -1, 0
	s_or_b64 s[2:3], s[4:5], s[2:3]
	s_andn2_b64 vcc, exec, s[2:3]
	s_mov_b64 s[2:3], -1
	s_cbranch_vccz .LBB0_5
; %bb.1:
	v_mov_b64_e32 v[4:5], 0x10000
	v_cmp_lt_i64_e32 vcc, s[10:11], v[4:5]
	s_and_b64 s[2:3], vcc, exec
	v_mov_b32_e32 v3, 0
	s_cselect_b32 s29, s11, 0
	s_cselect_b32 s28, s10, 0x10000
	v_lshlrev_b32_e32 v2, 2, v0
	v_cmp_gt_i64_e32 vcc, s[28:29], v[2:3]
	s_and_saveexec_b64 s[30:31], vcc
	s_cbranch_execz .LBB0_4
; %bb.2:
	s_load_dword s2, s[0:1], 0xbfc
	v_mov_b32_e32 v1, v3
	s_mov_b32 s35, 0
	v_lshlrev_b32_e32 v2, 5, v0
	s_mov_b64 s[36:37], 0
	s_waitcnt lgkmcnt(0)
	s_and_b32 s34, s2, 0xffff
	s_lshl_b32 s33, s34, 5
	v_mov_b64_e32 v[4:5], v[0:1]
.LBB0_3:                                ; =>This Inner Loop Header: Depth=1
	v_lshl_add_u64 v[30:31], s[12:13], 0, v[2:3]
	v_lshl_add_u64 v[32:33], s[22:23], 0, v[2:3]
	;; [unrolled: 1-line block ×3, first 2 shown]
	global_load_dwordx4 v[6:9], v[30:31], off
	global_load_dwordx4 v[10:13], v[32:33], off
	;; [unrolled: 1-line block ×3, first 2 shown]
	global_load_dwordx4 v[18:21], v[30:31], off offset:16
	global_load_dwordx4 v[22:25], v[32:33], off offset:16
	;; [unrolled: 1-line block ×3, first 2 shown]
	v_lshl_add_u64 v[30:31], s[26:27], 0, v[2:3]
	s_add_u32 s26, s26, s33
	s_addc_u32 s27, s27, 0
	s_add_u32 s12, s12, s33
	s_addc_u32 s13, s13, 0
	s_add_u32 s24, s24, s33
	v_lshl_add_u64 v[4:5], v[4:5], 0, s[34:35]
	s_addc_u32 s25, s25, 0
	v_lshlrev_b64 v[32:33], 2, v[4:5]
	s_add_u32 s22, s22, s33
	v_cmp_le_i64_e32 vcc, s[28:29], v[32:33]
	s_addc_u32 s23, s23, 0
	s_or_b64 s[36:37], vcc, s[36:37]
	s_waitcnt vmcnt(4)
	v_add_f64 v[32:33], v[10:11], -v[6:7]
	s_waitcnt vmcnt(3)
	v_add_f64 v[34:35], -v[14:15], 1.0
	v_add_f64 v[36:37], v[12:13], -v[8:9]
	v_add_f64 v[38:39], -v[16:17], 1.0
	s_waitcnt vmcnt(1)
	v_add_f64 v[40:41], v[22:23], -v[18:19]
	s_waitcnt vmcnt(0)
	v_add_f64 v[42:43], -v[26:27], 1.0
	v_add_f64 v[44:45], v[24:25], -v[20:21]
	v_add_f64 v[46:47], -v[28:29], 1.0
	v_fmac_f64_e32 v[6:7], v[32:33], v[14:15]
	v_fma_f64 v[10:11], -v[32:33], v[34:35], v[10:11]
	v_fmac_f64_e32 v[8:9], v[36:37], v[16:17]
	v_fma_f64 v[12:13], -v[36:37], v[38:39], v[12:13]
	v_cmp_lt_f64_e64 vcc, |v[16:17]|, 0.5
	v_cmp_lt_f64_e64 s[6:7], |v[14:15]|, 0.5
	v_fmac_f64_e32 v[18:19], v[40:41], v[26:27]
	v_fma_f64 v[16:17], -v[40:41], v[42:43], v[22:23]
	v_cmp_lt_f64_e64 s[2:3], |v[26:27]|, 0.5
	v_fmac_f64_e32 v[20:21], v[44:45], v[28:29]
	v_fma_f64 v[22:23], -v[44:45], v[46:47], v[24:25]
	v_cmp_lt_f64_e64 s[4:5], |v[28:29]|, 0.5
	v_cndmask_b32_e64 v7, v11, v7, s[6:7]
	v_cndmask_b32_e64 v6, v10, v6, s[6:7]
	v_cndmask_b32_e32 v9, v13, v9, vcc
	v_cndmask_b32_e32 v8, v12, v8, vcc
	v_cndmask_b32_e64 v11, v17, v19, s[2:3]
	v_cndmask_b32_e64 v10, v16, v18, s[2:3]
	;; [unrolled: 1-line block ×4, first 2 shown]
	global_store_dwordx4 v[30:31], v[6:9], off
	global_store_dwordx4 v[30:31], v[10:13], off offset:16
	s_andn2_b64 exec, exec, s[36:37]
	s_cbranch_execnz .LBB0_3
.LBB0_4:
	s_or_b64 exec, exec, s[30:31]
	s_mov_b64 s[2:3], 0
.LBB0_5:
	s_andn2_b64 vcc, exec, s[2:3]
	s_cbranch_vccnz .LBB0_33
; %bb.6:
	v_cmp_lt_i64_e64 s[2:3], s[10:11], 1
	s_and_b64 vcc, exec, s[2:3]
	s_cbranch_vccnz .LBB0_33
; %bb.7:
	s_load_dword s2, s[0:1], 0xbfc
	v_mov_b64_e32 v[2:3], 0x10000
	v_cmp_lt_i64_e32 vcc, s[10:11], v[2:3]
	s_and_b64 s[0:1], vcc, exec
	s_mov_b32 s3, 0
	s_cselect_b32 s7, s11, 0
	s_cselect_b32 s6, s10, 0x10000
	s_waitcnt lgkmcnt(0)
	s_and_b32 s2, s2, 0xffff
	v_cmp_lt_u64_e32 vcc, s[10:11], v[2:3]
	v_mov_b32_e32 v1, 0
	s_and_b64 s[0:1], vcc, exec
	s_mul_i32 s4, s2, 3
	s_mov_b32 s5, s3
	s_cselect_b32 s11, s11, 0
	s_cselect_b32 s10, s10, 0x10000
	v_lshlrev_b32_e32 v20, 3, v0
	v_mov_b32_e32 v21, v1
	v_lshl_add_u64 v[18:19], s[4:5], 0, v[0:1]
	s_lshl_b32 s4, s2, 4
	v_lshl_add_u64 v[30:31], v[0:1], 0, s[2:3]
	s_lshl_b32 s0, s2, 1
	s_mov_b32 s1, s3
	v_mad_u64_u32 v[16:17], s[24:25], s2, 24, v[20:21]
	v_lshl_add_u64 v[26:27], s[4:5], 0, v[20:21]
	v_lshlrev_b32_e32 v38, 3, v30
	v_mov_b32_e32 v39, v1
	s_lshl_b32 s22, s2, 2
	v_lshl_add_u64 v[2:3], s[14:15], 0, v[20:21]
	s_lshl_b32 s12, s2, 5
	s_mov_b32 s13, s3
	v_lshl_add_u64 v[4:5], s[16:17], 0, v[20:21]
	v_lshl_add_u64 v[6:7], s[18:19], 0, v[20:21]
	;; [unrolled: 1-line block ×16, first 2 shown]
	s_mov_b64 s[14:15], 0
	s_branch .LBB0_9
.LBB0_8:                                ;   in Loop: Header=BB0_9 Depth=1
	s_or_b64 exec, exec, s[0:1]
	s_add_u32 s14, s14, s22
	s_addc_u32 s15, s15, 0
	s_waitcnt vmcnt(0)
	v_mov_b64_e32 v[40:41], s[6:7]
	v_cmp_ge_i64_e32 vcc, s[14:15], v[40:41]
	v_lshl_add_u64 v[2:3], v[2:3], 0, s[12:13]
	v_lshl_add_u64 v[4:5], v[4:5], 0, s[12:13]
	;; [unrolled: 1-line block ×16, first 2 shown]
	s_cbranch_vccnz .LBB0_33
.LBB0_9:                                ; =>This Inner Loop Header: Depth=1
	v_lshl_add_u64 v[40:41], v[0:1], 0, s[14:15]
	v_cmp_gt_u64_e32 vcc, s[10:11], v[40:41]
	v_mov_b64_e32 v[40:41], 0
	v_mov_b64_e32 v[44:45], 0
	;; [unrolled: 1-line block ×3, first 2 shown]
	s_and_saveexec_b64 s[0:1], vcc
	s_cbranch_execz .LBB0_11
; %bb.10:                               ;   in Loop: Header=BB0_9 Depth=1
	v_lshl_add_u64 v[48:49], v[2:3], 0, s[8:9]
	v_lshl_add_u64 v[46:47], v[4:5], 0, s[8:9]
	global_load_dwordx2 v[42:43], v[48:49], off
	global_load_dwordx2 v[44:45], v[46:47], off
.LBB0_11:                               ;   in Loop: Header=BB0_9 Depth=1
	s_or_b64 exec, exec, s[0:1]
	s_and_saveexec_b64 s[0:1], vcc
	s_cbranch_execz .LBB0_13
; %bb.12:                               ;   in Loop: Header=BB0_9 Depth=1
	v_lshl_add_u64 v[40:41], v[6:7], 0, s[8:9]
	global_load_dwordx2 v[40:41], v[40:41], off
.LBB0_13:                               ;   in Loop: Header=BB0_9 Depth=1
	s_or_b64 exec, exec, s[0:1]
	v_lshl_add_u64 v[46:47], v[30:31], 0, s[14:15]
	v_cmp_gt_u64_e64 s[0:1], s[10:11], v[46:47]
	v_mov_b64_e32 v[46:47], 0
	v_mov_b64_e32 v[50:51], 0
	;; [unrolled: 1-line block ×3, first 2 shown]
	s_and_saveexec_b64 s[2:3], s[0:1]
	s_cbranch_execz .LBB0_15
; %bb.14:                               ;   in Loop: Header=BB0_9 Depth=1
	v_lshl_add_u64 v[54:55], v[32:33], 0, s[8:9]
	v_lshl_add_u64 v[52:53], v[34:35], 0, s[8:9]
	global_load_dwordx2 v[48:49], v[54:55], off
	global_load_dwordx2 v[50:51], v[52:53], off
.LBB0_15:                               ;   in Loop: Header=BB0_9 Depth=1
	s_or_b64 exec, exec, s[2:3]
	s_and_saveexec_b64 s[2:3], s[0:1]
	s_cbranch_execz .LBB0_17
; %bb.16:                               ;   in Loop: Header=BB0_9 Depth=1
	v_lshl_add_u64 v[46:47], v[36:37], 0, s[8:9]
	global_load_dwordx2 v[46:47], v[46:47], off
.LBB0_17:                               ;   in Loop: Header=BB0_9 Depth=1
	s_or_b64 exec, exec, s[2:3]
	v_lshl_add_u64 v[52:53], v[28:29], 0, s[14:15]
	v_cmp_gt_u64_e64 s[2:3], s[10:11], v[52:53]
	v_mov_b64_e32 v[52:53], 0
	v_mov_b64_e32 v[56:57], 0
	;; [unrolled: 1-line block ×3, first 2 shown]
	s_and_saveexec_b64 s[4:5], s[2:3]
	s_cbranch_execz .LBB0_19
; %bb.18:                               ;   in Loop: Header=BB0_9 Depth=1
	v_lshl_add_u64 v[60:61], v[20:21], 0, s[8:9]
	v_lshl_add_u64 v[58:59], v[22:23], 0, s[8:9]
	global_load_dwordx2 v[54:55], v[60:61], off
	global_load_dwordx2 v[56:57], v[58:59], off
.LBB0_19:                               ;   in Loop: Header=BB0_9 Depth=1
	s_or_b64 exec, exec, s[4:5]
	s_and_saveexec_b64 s[4:5], s[2:3]
	s_cbranch_execz .LBB0_21
; %bb.20:                               ;   in Loop: Header=BB0_9 Depth=1
	v_lshl_add_u64 v[52:53], v[24:25], 0, s[8:9]
	global_load_dwordx2 v[52:53], v[52:53], off
.LBB0_21:                               ;   in Loop: Header=BB0_9 Depth=1
	s_or_b64 exec, exec, s[4:5]
	v_lshl_add_u64 v[58:59], v[18:19], 0, s[14:15]
	v_cmp_gt_u64_e64 s[4:5], s[10:11], v[58:59]
	v_mov_b64_e32 v[58:59], 0
	v_mov_b64_e32 v[62:63], 0
	;; [unrolled: 1-line block ×3, first 2 shown]
	s_and_saveexec_b64 s[16:17], s[4:5]
	s_cbranch_execnz .LBB0_27
; %bb.22:                               ;   in Loop: Header=BB0_9 Depth=1
	s_or_b64 exec, exec, s[16:17]
	s_and_saveexec_b64 s[16:17], s[4:5]
	s_cbranch_execnz .LBB0_28
.LBB0_23:                               ;   in Loop: Header=BB0_9 Depth=1
	s_or_b64 exec, exec, s[16:17]
	s_and_saveexec_b64 s[16:17], vcc
	s_cbranch_execnz .LBB0_29
.LBB0_24:                               ;   in Loop: Header=BB0_9 Depth=1
	s_or_b64 exec, exec, s[16:17]
	s_and_saveexec_b64 s[16:17], s[0:1]
	s_cbranch_execnz .LBB0_30
.LBB0_25:                               ;   in Loop: Header=BB0_9 Depth=1
	s_or_b64 exec, exec, s[16:17]
	s_and_saveexec_b64 s[0:1], s[2:3]
	s_cbranch_execnz .LBB0_31
.LBB0_26:                               ;   in Loop: Header=BB0_9 Depth=1
	s_or_b64 exec, exec, s[0:1]
	s_and_saveexec_b64 s[0:1], s[4:5]
	s_cbranch_execz .LBB0_8
	s_branch .LBB0_32
.LBB0_27:                               ;   in Loop: Header=BB0_9 Depth=1
	v_lshl_add_u64 v[66:67], v[10:11], 0, s[8:9]
	v_lshl_add_u64 v[64:65], v[12:13], 0, s[8:9]
	global_load_dwordx2 v[60:61], v[66:67], off
	global_load_dwordx2 v[62:63], v[64:65], off
	s_or_b64 exec, exec, s[16:17]
	s_and_saveexec_b64 s[16:17], s[4:5]
	s_cbranch_execz .LBB0_23
.LBB0_28:                               ;   in Loop: Header=BB0_9 Depth=1
	v_lshl_add_u64 v[58:59], v[14:15], 0, s[8:9]
	global_load_dwordx2 v[58:59], v[58:59], off
	s_or_b64 exec, exec, s[16:17]
	s_and_saveexec_b64 s[16:17], vcc
	s_cbranch_execz .LBB0_24
.LBB0_29:                               ;   in Loop: Header=BB0_9 Depth=1
	s_waitcnt vmcnt(0)
	v_add_f64 v[66:67], v[44:45], -v[42:43]
	v_add_f64 v[68:69], -v[40:41], 1.0
	v_fmac_f64_e32 v[42:43], v[66:67], v[40:41]
	v_fma_f64 v[44:45], -v[66:67], v[68:69], v[44:45]
	v_cmp_lt_f64_e64 vcc, |v[40:41]|, 0.5
	v_lshl_add_u64 v[64:65], v[8:9], 0, s[8:9]
	s_nop 0
	v_cndmask_b32_e32 v41, v45, v43, vcc
	v_cndmask_b32_e32 v40, v44, v42, vcc
	global_store_dwordx2 v[64:65], v[40:41], off
	s_or_b64 exec, exec, s[16:17]
	s_and_saveexec_b64 s[16:17], s[0:1]
	s_cbranch_execz .LBB0_25
.LBB0_30:                               ;   in Loop: Header=BB0_9 Depth=1
	s_waitcnt vmcnt(0)
	v_add_f64 v[40:41], v[50:51], -v[48:49]
	v_add_f64 v[42:43], -v[46:47], 1.0
	v_fmac_f64_e32 v[48:49], v[40:41], v[46:47]
	v_fma_f64 v[40:41], -v[40:41], v[42:43], v[50:51]
	v_cmp_lt_f64_e64 vcc, |v[46:47]|, 0.5
	v_lshl_add_u64 v[42:43], v[38:39], 0, s[8:9]
	s_nop 0
	v_cndmask_b32_e32 v41, v41, v49, vcc
	v_cndmask_b32_e32 v40, v40, v48, vcc
	global_store_dwordx2 v[42:43], v[40:41], off
	s_or_b64 exec, exec, s[16:17]
	s_and_saveexec_b64 s[0:1], s[2:3]
	s_cbranch_execz .LBB0_26
.LBB0_31:                               ;   in Loop: Header=BB0_9 Depth=1
	s_waitcnt vmcnt(0)
	v_add_f64 v[40:41], v[56:57], -v[54:55]
	v_add_f64 v[42:43], -v[52:53], 1.0
	v_fmac_f64_e32 v[54:55], v[40:41], v[52:53]
	v_fma_f64 v[40:41], -v[40:41], v[42:43], v[56:57]
	v_cmp_lt_f64_e64 vcc, |v[52:53]|, 0.5
	v_lshl_add_u64 v[42:43], v[26:27], 0, s[8:9]
	s_nop 0
	v_cndmask_b32_e32 v41, v41, v55, vcc
	v_cndmask_b32_e32 v40, v40, v54, vcc
	global_store_dwordx2 v[42:43], v[40:41], off
	s_or_b64 exec, exec, s[0:1]
	s_and_saveexec_b64 s[0:1], s[4:5]
	s_cbranch_execz .LBB0_8
.LBB0_32:                               ;   in Loop: Header=BB0_9 Depth=1
	s_waitcnt vmcnt(0)
	v_add_f64 v[40:41], v[62:63], -v[60:61]
	v_add_f64 v[42:43], -v[58:59], 1.0
	v_fmac_f64_e32 v[60:61], v[40:41], v[58:59]
	v_fma_f64 v[40:41], -v[40:41], v[42:43], v[62:63]
	v_cmp_lt_f64_e64 vcc, |v[58:59]|, 0.5
	v_lshl_add_u64 v[42:43], v[16:17], 0, s[8:9]
	s_nop 0
	v_cndmask_b32_e32 v41, v41, v61, vcc
	v_cndmask_b32_e32 v40, v40, v60, vcc
	global_store_dwordx2 v[42:43], v[40:41], off
	s_branch .LBB0_8
.LBB0_33:
	s_endpgm
	.section	.rodata,"a",@progbits
	.p2align	6, 0x0
	.amdhsa_kernel _ZN2at6native12_GLOBAL__N_125multi_tensor_apply_kernelINS1_18TensorListMetadataILi4EEENS1_20TernaryOpListFunctorIdLi4ELi3ELi3EEEJNS0_11LerpFunctorIdEEEEEvT_T0_DpT1_
		.amdhsa_group_segment_fixed_size 0
		.amdhsa_private_segment_fixed_size 0
		.amdhsa_kernarg_size 3312
		.amdhsa_user_sgpr_count 2
		.amdhsa_user_sgpr_dispatch_ptr 0
		.amdhsa_user_sgpr_queue_ptr 0
		.amdhsa_user_sgpr_kernarg_segment_ptr 1
		.amdhsa_user_sgpr_dispatch_id 0
		.amdhsa_user_sgpr_kernarg_preload_length 0
		.amdhsa_user_sgpr_kernarg_preload_offset 0
		.amdhsa_user_sgpr_private_segment_size 0
		.amdhsa_uses_dynamic_stack 0
		.amdhsa_enable_private_segment 0
		.amdhsa_system_sgpr_workgroup_id_x 1
		.amdhsa_system_sgpr_workgroup_id_y 0
		.amdhsa_system_sgpr_workgroup_id_z 0
		.amdhsa_system_sgpr_workgroup_info 0
		.amdhsa_system_vgpr_workitem_id 0
		.amdhsa_next_free_vgpr 70
		.amdhsa_next_free_sgpr 38
		.amdhsa_accum_offset 72
		.amdhsa_reserve_vcc 1
		.amdhsa_float_round_mode_32 0
		.amdhsa_float_round_mode_16_64 0
		.amdhsa_float_denorm_mode_32 3
		.amdhsa_float_denorm_mode_16_64 3
		.amdhsa_dx10_clamp 1
		.amdhsa_ieee_mode 1
		.amdhsa_fp16_overflow 0
		.amdhsa_tg_split 0
		.amdhsa_exception_fp_ieee_invalid_op 0
		.amdhsa_exception_fp_denorm_src 0
		.amdhsa_exception_fp_ieee_div_zero 0
		.amdhsa_exception_fp_ieee_overflow 0
		.amdhsa_exception_fp_ieee_underflow 0
		.amdhsa_exception_fp_ieee_inexact 0
		.amdhsa_exception_int_div_zero 0
	.end_amdhsa_kernel
	.section	.text._ZN2at6native12_GLOBAL__N_125multi_tensor_apply_kernelINS1_18TensorListMetadataILi4EEENS1_20TernaryOpListFunctorIdLi4ELi3ELi3EEEJNS0_11LerpFunctorIdEEEEEvT_T0_DpT1_,"axG",@progbits,_ZN2at6native12_GLOBAL__N_125multi_tensor_apply_kernelINS1_18TensorListMetadataILi4EEENS1_20TernaryOpListFunctorIdLi4ELi3ELi3EEEJNS0_11LerpFunctorIdEEEEEvT_T0_DpT1_,comdat
.Lfunc_end0:
	.size	_ZN2at6native12_GLOBAL__N_125multi_tensor_apply_kernelINS1_18TensorListMetadataILi4EEENS1_20TernaryOpListFunctorIdLi4ELi3ELi3EEEJNS0_11LerpFunctorIdEEEEEvT_T0_DpT1_, .Lfunc_end0-_ZN2at6native12_GLOBAL__N_125multi_tensor_apply_kernelINS1_18TensorListMetadataILi4EEENS1_20TernaryOpListFunctorIdLi4ELi3ELi3EEEJNS0_11LerpFunctorIdEEEEEvT_T0_DpT1_
                                        ; -- End function
	.set _ZN2at6native12_GLOBAL__N_125multi_tensor_apply_kernelINS1_18TensorListMetadataILi4EEENS1_20TernaryOpListFunctorIdLi4ELi3ELi3EEEJNS0_11LerpFunctorIdEEEEEvT_T0_DpT1_.num_vgpr, 70
	.set _ZN2at6native12_GLOBAL__N_125multi_tensor_apply_kernelINS1_18TensorListMetadataILi4EEENS1_20TernaryOpListFunctorIdLi4ELi3ELi3EEEJNS0_11LerpFunctorIdEEEEEvT_T0_DpT1_.num_agpr, 0
	.set _ZN2at6native12_GLOBAL__N_125multi_tensor_apply_kernelINS1_18TensorListMetadataILi4EEENS1_20TernaryOpListFunctorIdLi4ELi3ELi3EEEJNS0_11LerpFunctorIdEEEEEvT_T0_DpT1_.numbered_sgpr, 38
	.set _ZN2at6native12_GLOBAL__N_125multi_tensor_apply_kernelINS1_18TensorListMetadataILi4EEENS1_20TernaryOpListFunctorIdLi4ELi3ELi3EEEJNS0_11LerpFunctorIdEEEEEvT_T0_DpT1_.num_named_barrier, 0
	.set _ZN2at6native12_GLOBAL__N_125multi_tensor_apply_kernelINS1_18TensorListMetadataILi4EEENS1_20TernaryOpListFunctorIdLi4ELi3ELi3EEEJNS0_11LerpFunctorIdEEEEEvT_T0_DpT1_.private_seg_size, 0
	.set _ZN2at6native12_GLOBAL__N_125multi_tensor_apply_kernelINS1_18TensorListMetadataILi4EEENS1_20TernaryOpListFunctorIdLi4ELi3ELi3EEEJNS0_11LerpFunctorIdEEEEEvT_T0_DpT1_.uses_vcc, 1
	.set _ZN2at6native12_GLOBAL__N_125multi_tensor_apply_kernelINS1_18TensorListMetadataILi4EEENS1_20TernaryOpListFunctorIdLi4ELi3ELi3EEEJNS0_11LerpFunctorIdEEEEEvT_T0_DpT1_.uses_flat_scratch, 0
	.set _ZN2at6native12_GLOBAL__N_125multi_tensor_apply_kernelINS1_18TensorListMetadataILi4EEENS1_20TernaryOpListFunctorIdLi4ELi3ELi3EEEJNS0_11LerpFunctorIdEEEEEvT_T0_DpT1_.has_dyn_sized_stack, 0
	.set _ZN2at6native12_GLOBAL__N_125multi_tensor_apply_kernelINS1_18TensorListMetadataILi4EEENS1_20TernaryOpListFunctorIdLi4ELi3ELi3EEEJNS0_11LerpFunctorIdEEEEEvT_T0_DpT1_.has_recursion, 0
	.set _ZN2at6native12_GLOBAL__N_125multi_tensor_apply_kernelINS1_18TensorListMetadataILi4EEENS1_20TernaryOpListFunctorIdLi4ELi3ELi3EEEJNS0_11LerpFunctorIdEEEEEvT_T0_DpT1_.has_indirect_call, 0
	.section	.AMDGPU.csdata,"",@progbits
; Kernel info:
; codeLenInByte = 1976
; TotalNumSgprs: 44
; NumVgprs: 70
; NumAgprs: 0
; TotalNumVgprs: 70
; ScratchSize: 0
; MemoryBound: 0
; FloatMode: 240
; IeeeMode: 1
; LDSByteSize: 0 bytes/workgroup (compile time only)
; SGPRBlocks: 5
; VGPRBlocks: 8
; NumSGPRsForWavesPerEU: 44
; NumVGPRsForWavesPerEU: 70
; AccumOffset: 72
; Occupancy: 7
; WaveLimiterHint : 0
; COMPUTE_PGM_RSRC2:SCRATCH_EN: 0
; COMPUTE_PGM_RSRC2:USER_SGPR: 2
; COMPUTE_PGM_RSRC2:TRAP_HANDLER: 0
; COMPUTE_PGM_RSRC2:TGID_X_EN: 1
; COMPUTE_PGM_RSRC2:TGID_Y_EN: 0
; COMPUTE_PGM_RSRC2:TGID_Z_EN: 0
; COMPUTE_PGM_RSRC2:TIDIG_COMP_CNT: 0
; COMPUTE_PGM_RSRC3_GFX90A:ACCUM_OFFSET: 17
; COMPUTE_PGM_RSRC3_GFX90A:TG_SPLIT: 0
	.section	.text._ZN2at6native12_GLOBAL__N_125multi_tensor_apply_kernelINS1_18TensorListMetadataILi4EEENS1_20TernaryOpListFunctorIfLi4ELi3ELi3EEEJNS0_11LerpFunctorIfEEEEEvT_T0_DpT1_,"axG",@progbits,_ZN2at6native12_GLOBAL__N_125multi_tensor_apply_kernelINS1_18TensorListMetadataILi4EEENS1_20TernaryOpListFunctorIfLi4ELi3ELi3EEEJNS0_11LerpFunctorIfEEEEEvT_T0_DpT1_,comdat
	.globl	_ZN2at6native12_GLOBAL__N_125multi_tensor_apply_kernelINS1_18TensorListMetadataILi4EEENS1_20TernaryOpListFunctorIfLi4ELi3ELi3EEEJNS0_11LerpFunctorIfEEEEEvT_T0_DpT1_ ; -- Begin function _ZN2at6native12_GLOBAL__N_125multi_tensor_apply_kernelINS1_18TensorListMetadataILi4EEENS1_20TernaryOpListFunctorIfLi4ELi3ELi3EEEJNS0_11LerpFunctorIfEEEEEvT_T0_DpT1_
	.p2align	8
	.type	_ZN2at6native12_GLOBAL__N_125multi_tensor_apply_kernelINS1_18TensorListMetadataILi4EEENS1_20TernaryOpListFunctorIfLi4ELi3ELi3EEEJNS0_11LerpFunctorIfEEEEEvT_T0_DpT1_,@function
_ZN2at6native12_GLOBAL__N_125multi_tensor_apply_kernelINS1_18TensorListMetadataILi4EEENS1_20TernaryOpListFunctorIfLi4ELi3ELi3EEEJNS0_11LerpFunctorIfEEEEEvT_T0_DpT1_: ; @_ZN2at6native12_GLOBAL__N_125multi_tensor_apply_kernelINS1_18TensorListMetadataILi4EEENS1_20TernaryOpListFunctorIfLi4ELi3ELi3EEEJNS0_11LerpFunctorIfEEEEEvT_T0_DpT1_
; %bb.0:
	v_mov_b32_e32 v1, s2
	global_load_ubyte v1, v1, s[0:1] offset:1440
	s_add_u32 s4, s0, s2
	s_mul_hi_u32 s7, s2, 3
	s_mul_i32 s2, s2, 3
	s_addc_u32 s8, s1, 0
	s_add_u32 s6, s4, s2
	s_addc_u32 s7, s8, s7
	s_load_dword s6, s[6:7], 0x6e0
	s_mov_b32 s3, 0
	s_mov_b32 s5, s3
	;; [unrolled: 1-line block ×3, first 2 shown]
	s_waitcnt lgkmcnt(0)
	s_ashr_i32 s7, s6, 31
	s_lshl_b64 s[8:9], s[6:7], 18
	s_waitcnt vmcnt(0)
	v_readfirstlane_b32 s2, v1
	s_lshl_b32 s2, s2, 3
	s_load_dwordx2 s[22:23], s[0:1], s2 offset:0x480
	s_load_dwordx2 s[14:15], s[0:1], s2 offset:0x0
	;; [unrolled: 1-line block ×5, first 2 shown]
	s_waitcnt lgkmcnt(0)
	s_and_b32 s2, s14, 15
	s_add_u32 s4, s16, s8
	s_and_b32 s4, s4, 15
	s_cmp_lg_u64 s[4:5], 0
	s_cselect_b64 s[4:5], -1, 0
	s_add_u32 s10, s18, s8
	s_or_b32 s10, s20, s10
	s_and_b32 s10, s10, 15
	s_cmp_lg_u32 s10, 0
	s_cselect_b64 s[10:11], -1, 0
	s_lshl_b64 s[6:7], s[6:7], 16
	s_or_b64 s[4:5], s[10:11], s[4:5]
	s_sub_u32 s10, s22, s6
	s_subb_u32 s11, s23, s7
	s_and_b32 s12, s22, 3
	s_or_b64 s[2:3], s[2:3], s[12:13]
	s_cmp_lg_u64 s[2:3], 0
	s_cselect_b64 s[2:3], -1, 0
	s_or_b64 s[2:3], s[4:5], s[2:3]
	s_andn2_b64 vcc, exec, s[2:3]
	s_mov_b64 s[2:3], -1
	s_cbranch_vccz .LBB1_5
; %bb.1:
	v_mov_b64_e32 v[4:5], 0x10000
	v_cmp_lt_i64_e32 vcc, s[10:11], v[4:5]
	s_and_b64 s[2:3], vcc, exec
	v_mov_b32_e32 v3, 0
	s_cselect_b32 s13, s11, 0
	s_cselect_b32 s12, s10, 0x10000
	v_lshlrev_b32_e32 v2, 2, v0
	v_cmp_gt_i64_e32 vcc, s[12:13], v[2:3]
	s_and_saveexec_b64 s[22:23], vcc
	s_cbranch_execz .LBB1_4
; %bb.2:
	s_load_dword s2, s[0:1], 0xbfc
	v_mov_b32_e32 v1, v3
	s_mov_b32 s25, 0
	v_lshlrev_b32_e32 v2, 4, v0
	v_lshl_add_u64 v[2:3], s[8:9], 0, v[2:3]
	s_waitcnt lgkmcnt(0)
	s_and_b32 s24, s2, 0xffff
	s_lshl_b32 s26, s24, 4
	s_add_u32 s28, s14, 8
	s_addc_u32 s29, s15, 0
	s_add_u32 s30, s16, 8
	s_mov_b32 s27, s25
	s_addc_u32 s31, s17, 0
	s_mov_b64 s[34:35], 0
	v_mov_b64_e32 v[4:5], v[0:1]
.LBB1_3:                                ; =>This Inner Loop Header: Depth=1
	v_lshl_add_u64 v[18:19], s[28:29], 0, v[2:3]
	v_lshl_add_u64 v[20:21], s[30:31], 0, v[2:3]
	;; [unrolled: 1-line block ×3, first 2 shown]
	global_load_dwordx4 v[6:9], v[18:19], off offset:-8
	global_load_dwordx4 v[10:13], v[20:21], off offset:-8
	global_load_dwordx4 v[14:17], v[22:23], off
	v_lshl_add_u64 v[4:5], v[4:5], 0, s[24:25]
	v_lshlrev_b64 v[20:21], 2, v[4:5]
	v_cmp_le_i64_e32 vcc, s[12:13], v[20:21]
	s_or_b64 s[34:35], vcc, s[34:35]
	v_lshl_add_u64 v[18:19], s[20:21], 0, v[2:3]
	v_lshl_add_u64 v[2:3], v[2:3], 0, s[26:27]
	s_waitcnt vmcnt(1)
	v_pk_add_f32 v[20:21], v[10:11], v[6:7] neg_lo:[0,1] neg_hi:[0,1]
	s_waitcnt vmcnt(0)
	v_pk_add_f32 v[22:23], v[14:15], 1.0 op_sel_hi:[1,0] neg_lo:[1,0] neg_hi:[1,0]
	v_pk_add_f32 v[24:25], v[12:13], v[8:9] neg_lo:[0,1] neg_hi:[0,1]
	v_pk_add_f32 v[26:27], v[16:17], 1.0 op_sel_hi:[1,0] neg_lo:[1,0] neg_hi:[1,0]
	v_pk_fma_f32 v[6:7], v[20:21], v[14:15], v[6:7]
	v_pk_fma_f32 v[10:11], v[20:21], v[22:23], v[10:11] neg_lo:[1,0,0] neg_hi:[1,0,0]
	v_cmp_lt_f32_e64 vcc, |v14|, 0.5
	v_pk_fma_f32 v[8:9], v[24:25], v[16:17], v[8:9]
	v_pk_fma_f32 v[12:13], v[24:25], v[26:27], v[12:13] neg_lo:[1,0,0] neg_hi:[1,0,0]
	v_cmp_lt_f32_e64 s[2:3], |v16|, 0.5
	v_cmp_lt_f32_e64 s[4:5], |v17|, 0.5
	v_cmp_lt_f32_e64 s[6:7], |v15|, 0.5
	v_cndmask_b32_e32 v6, v10, v6, vcc
	v_cndmask_b32_e64 v9, v13, v9, s[4:5]
	v_cndmask_b32_e64 v7, v11, v7, s[6:7]
	;; [unrolled: 1-line block ×3, first 2 shown]
	global_store_dwordx4 v[18:19], v[6:9], off
	s_andn2_b64 exec, exec, s[34:35]
	s_cbranch_execnz .LBB1_3
.LBB1_4:
	s_or_b64 exec, exec, s[22:23]
	s_mov_b64 s[2:3], 0
.LBB1_5:
	s_andn2_b64 vcc, exec, s[2:3]
	s_cbranch_vccnz .LBB1_33
; %bb.6:
	v_cmp_lt_i64_e64 s[2:3], s[10:11], 1
	s_and_b64 vcc, exec, s[2:3]
	s_cbranch_vccnz .LBB1_33
; %bb.7:
	s_load_dword s2, s[0:1], 0xbfc
	v_mov_b64_e32 v[2:3], 0x10000
	v_cmp_lt_i64_e32 vcc, s[10:11], v[2:3]
	s_and_b64 s[0:1], vcc, exec
	s_mov_b32 s3, 0
	s_cselect_b32 s7, s11, 0
	s_cselect_b32 s6, s10, 0x10000
	s_waitcnt lgkmcnt(0)
	s_and_b32 s2, s2, 0xffff
	v_cmp_lt_u64_e32 vcc, s[10:11], v[2:3]
	v_mov_b32_e32 v1, 0
	s_and_b64 s[0:1], vcc, exec
	s_mul_i32 s4, s2, 3
	s_mov_b32 s5, s3
	s_cselect_b32 s11, s11, 0
	s_cselect_b32 s10, s10, 0x10000
	v_lshlrev_b32_e32 v20, 2, v0
	v_mov_b32_e32 v21, v1
	v_lshl_add_u64 v[18:19], s[4:5], 0, v[0:1]
	s_lshl_b32 s4, s2, 3
	v_lshl_add_u64 v[30:31], v[0:1], 0, s[2:3]
	s_lshl_b32 s0, s2, 1
	s_mov_b32 s1, s3
	v_mad_u64_u32 v[16:17], s[24:25], s2, 12, v[20:21]
	v_lshl_add_u64 v[26:27], s[4:5], 0, v[20:21]
	v_lshlrev_b32_e32 v38, 2, v30
	v_mov_b32_e32 v39, v1
	s_lshl_b32 s22, s2, 2
	v_lshl_add_u64 v[2:3], s[14:15], 0, v[20:21]
	s_lshl_b32 s12, s2, 4
	s_mov_b32 s13, s3
	v_lshl_add_u64 v[4:5], s[16:17], 0, v[20:21]
	v_lshl_add_u64 v[6:7], s[18:19], 0, v[20:21]
	v_lshl_add_u64 v[8:9], s[20:21], 0, v[20:21]
	v_lshl_add_u64 v[10:11], s[14:15], 0, v[16:17]
	v_lshl_add_u64 v[12:13], s[16:17], 0, v[16:17]
	v_lshl_add_u64 v[14:15], s[18:19], 0, v[16:17]
	v_lshl_add_u64 v[16:17], s[20:21], 0, v[16:17]
	v_lshl_add_u64 v[20:21], s[14:15], 0, v[26:27]
	v_lshl_add_u64 v[22:23], s[16:17], 0, v[26:27]
	v_lshl_add_u64 v[24:25], s[18:19], 0, v[26:27]
	v_lshl_add_u64 v[26:27], s[20:21], 0, v[26:27]
	v_lshl_add_u64 v[28:29], s[0:1], 0, v[0:1]
	v_lshl_add_u64 v[32:33], s[14:15], 0, v[38:39]
	v_lshl_add_u64 v[34:35], s[16:17], 0, v[38:39]
	v_lshl_add_u64 v[36:37], s[18:19], 0, v[38:39]
	v_lshl_add_u64 v[38:39], s[20:21], 0, v[38:39]
	s_mov_b64 s[14:15], 0
	v_mov_b32_e32 v41, 1.0
	s_branch .LBB1_9
.LBB1_8:                                ;   in Loop: Header=BB1_9 Depth=1
	s_or_b64 exec, exec, s[0:1]
	s_add_u32 s14, s14, s22
	s_addc_u32 s15, s15, 0
	s_waitcnt vmcnt(0)
	v_mov_b64_e32 v[42:43], s[6:7]
	v_cmp_ge_i64_e32 vcc, s[14:15], v[42:43]
	v_lshl_add_u64 v[2:3], v[2:3], 0, s[12:13]
	v_lshl_add_u64 v[4:5], v[4:5], 0, s[12:13]
	;; [unrolled: 1-line block ×16, first 2 shown]
	s_cbranch_vccnz .LBB1_33
.LBB1_9:                                ; =>This Inner Loop Header: Depth=1
	v_lshl_add_u64 v[42:43], v[0:1], 0, s[14:15]
	v_cmp_gt_u64_e32 vcc, s[10:11], v[42:43]
	v_mov_b32_e32 v40, 0
	v_mov_b32_e32 v42, 0
	s_and_saveexec_b64 s[0:1], vcc
	s_cbranch_execz .LBB1_11
; %bb.10:                               ;   in Loop: Header=BB1_9 Depth=1
	v_lshl_add_u64 v[46:47], v[2:3], 0, s[8:9]
	v_lshl_add_u64 v[44:45], v[4:5], 0, s[8:9]
	global_load_dword v42, v[46:47], off
	global_load_dword v40, v[44:45], off
.LBB1_11:                               ;   in Loop: Header=BB1_9 Depth=1
	s_or_b64 exec, exec, s[0:1]
	v_mov_b32_e32 v44, 0
	v_mov_b32_e32 v43, 0
	s_and_saveexec_b64 s[0:1], vcc
	s_cbranch_execz .LBB1_13
; %bb.12:                               ;   in Loop: Header=BB1_9 Depth=1
	v_lshl_add_u64 v[46:47], v[6:7], 0, s[8:9]
	global_load_dword v43, v[46:47], off
.LBB1_13:                               ;   in Loop: Header=BB1_9 Depth=1
	s_or_b64 exec, exec, s[0:1]
	v_lshl_add_u64 v[46:47], v[30:31], 0, s[14:15]
	v_cmp_gt_u64_e64 s[0:1], s[10:11], v[46:47]
	v_mov_b32_e32 v45, 0
	s_and_saveexec_b64 s[2:3], s[0:1]
	s_cbranch_execz .LBB1_15
; %bb.14:                               ;   in Loop: Header=BB1_9 Depth=1
	v_lshl_add_u64 v[48:49], v[32:33], 0, s[8:9]
	v_lshl_add_u64 v[46:47], v[34:35], 0, s[8:9]
	global_load_dword v45, v[48:49], off
	global_load_dword v44, v[46:47], off
.LBB1_15:                               ;   in Loop: Header=BB1_9 Depth=1
	s_or_b64 exec, exec, s[2:3]
	v_mov_b32_e32 v46, 0
	v_mov_b32_e32 v48, 0
	s_and_saveexec_b64 s[2:3], s[0:1]
	s_cbranch_execz .LBB1_17
; %bb.16:                               ;   in Loop: Header=BB1_9 Depth=1
	v_lshl_add_u64 v[48:49], v[36:37], 0, s[8:9]
	global_load_dword v48, v[48:49], off
.LBB1_17:                               ;   in Loop: Header=BB1_9 Depth=1
	s_or_b64 exec, exec, s[2:3]
	v_lshl_add_u64 v[50:51], v[28:29], 0, s[14:15]
	v_cmp_gt_u64_e64 s[2:3], s[10:11], v[50:51]
	v_mov_b32_e32 v47, 0
	s_and_saveexec_b64 s[4:5], s[2:3]
	s_cbranch_execz .LBB1_19
; %bb.18:                               ;   in Loop: Header=BB1_9 Depth=1
	v_lshl_add_u64 v[52:53], v[20:21], 0, s[8:9]
	v_lshl_add_u64 v[50:51], v[22:23], 0, s[8:9]
	global_load_dword v47, v[52:53], off
	global_load_dword v46, v[50:51], off
.LBB1_19:                               ;   in Loop: Header=BB1_9 Depth=1
	s_or_b64 exec, exec, s[4:5]
	v_mov_b32_e32 v49, 0
	v_mov_b32_e32 v51, 0
	s_and_saveexec_b64 s[4:5], s[2:3]
	s_cbranch_execz .LBB1_21
; %bb.20:                               ;   in Loop: Header=BB1_9 Depth=1
	v_lshl_add_u64 v[50:51], v[24:25], 0, s[8:9]
	global_load_dword v51, v[50:51], off
.LBB1_21:                               ;   in Loop: Header=BB1_9 Depth=1
	s_or_b64 exec, exec, s[4:5]
	v_lshl_add_u64 v[52:53], v[18:19], 0, s[14:15]
	v_cmp_gt_u64_e64 s[4:5], s[10:11], v[52:53]
	v_mov_b32_e32 v50, 0
	s_and_saveexec_b64 s[16:17], s[4:5]
	s_cbranch_execnz .LBB1_27
; %bb.22:                               ;   in Loop: Header=BB1_9 Depth=1
	s_or_b64 exec, exec, s[16:17]
	v_mov_b32_e32 v52, 0
	s_and_saveexec_b64 s[16:17], s[4:5]
	s_cbranch_execnz .LBB1_28
.LBB1_23:                               ;   in Loop: Header=BB1_9 Depth=1
	s_or_b64 exec, exec, s[16:17]
	s_and_saveexec_b64 s[16:17], vcc
	s_cbranch_execnz .LBB1_29
.LBB1_24:                               ;   in Loop: Header=BB1_9 Depth=1
	s_or_b64 exec, exec, s[16:17]
	s_and_saveexec_b64 s[16:17], s[0:1]
	s_cbranch_execnz .LBB1_30
.LBB1_25:                               ;   in Loop: Header=BB1_9 Depth=1
	s_or_b64 exec, exec, s[16:17]
	s_and_saveexec_b64 s[0:1], s[2:3]
	s_cbranch_execnz .LBB1_31
.LBB1_26:                               ;   in Loop: Header=BB1_9 Depth=1
	s_or_b64 exec, exec, s[0:1]
	s_and_saveexec_b64 s[0:1], s[4:5]
	s_cbranch_execz .LBB1_8
	s_branch .LBB1_32
.LBB1_27:                               ;   in Loop: Header=BB1_9 Depth=1
	v_lshl_add_u64 v[54:55], v[10:11], 0, s[8:9]
	v_lshl_add_u64 v[52:53], v[12:13], 0, s[8:9]
	global_load_dword v50, v[54:55], off
	global_load_dword v49, v[52:53], off
	s_or_b64 exec, exec, s[16:17]
	v_mov_b32_e32 v52, 0
	s_and_saveexec_b64 s[16:17], s[4:5]
	s_cbranch_execz .LBB1_23
.LBB1_28:                               ;   in Loop: Header=BB1_9 Depth=1
	v_lshl_add_u64 v[52:53], v[14:15], 0, s[8:9]
	global_load_dword v52, v[52:53], off
	s_or_b64 exec, exec, s[16:17]
	s_and_saveexec_b64 s[16:17], vcc
	s_cbranch_execz .LBB1_24
.LBB1_29:                               ;   in Loop: Header=BB1_9 Depth=1
	s_waitcnt vmcnt(0)
	v_pk_add_f32 v[56:57], v[40:41], v[42:43] neg_lo:[0,1] neg_hi:[0,1]
	v_cmp_lt_f32_e64 vcc, |v43|, 0.5
	v_fmac_f32_e32 v42, v56, v43
	v_fma_f32 v40, -v56, v57, v40
	v_lshl_add_u64 v[54:55], v[8:9], 0, s[8:9]
	v_cndmask_b32_e32 v40, v40, v42, vcc
	global_store_dword v[54:55], v40, off
	s_or_b64 exec, exec, s[16:17]
	s_and_saveexec_b64 s[16:17], s[0:1]
	s_cbranch_execz .LBB1_25
.LBB1_30:                               ;   in Loop: Header=BB1_9 Depth=1
	s_waitcnt vmcnt(0)
	v_sub_f32_e32 v40, v44, v45
	v_sub_f32_e32 v42, 1.0, v48
	v_fmac_f32_e32 v45, v40, v48
	v_fma_f32 v40, -v40, v42, v44
	v_cmp_lt_f32_e64 vcc, |v48|, 0.5
	v_lshl_add_u64 v[42:43], v[38:39], 0, s[8:9]
	s_nop 0
	v_cndmask_b32_e32 v40, v40, v45, vcc
	global_store_dword v[42:43], v40, off
	s_or_b64 exec, exec, s[16:17]
	s_and_saveexec_b64 s[0:1], s[2:3]
	s_cbranch_execz .LBB1_26
.LBB1_31:                               ;   in Loop: Header=BB1_9 Depth=1
	s_waitcnt vmcnt(0)
	v_sub_f32_e32 v40, v46, v47
	v_sub_f32_e32 v42, 1.0, v51
	v_fmac_f32_e32 v47, v40, v51
	v_fma_f32 v40, -v40, v42, v46
	v_cmp_lt_f32_e64 vcc, |v51|, 0.5
	v_lshl_add_u64 v[42:43], v[26:27], 0, s[8:9]
	s_nop 0
	v_cndmask_b32_e32 v40, v40, v47, vcc
	global_store_dword v[42:43], v40, off
	s_or_b64 exec, exec, s[0:1]
	s_and_saveexec_b64 s[0:1], s[4:5]
	s_cbranch_execz .LBB1_8
.LBB1_32:                               ;   in Loop: Header=BB1_9 Depth=1
	s_waitcnt vmcnt(0)
	v_sub_f32_e32 v40, v49, v50
	v_sub_f32_e32 v42, 1.0, v52
	v_fmac_f32_e32 v50, v40, v52
	v_fma_f32 v40, -v40, v42, v49
	v_cmp_lt_f32_e64 vcc, |v52|, 0.5
	v_lshl_add_u64 v[42:43], v[16:17], 0, s[8:9]
	s_nop 0
	v_cndmask_b32_e32 v40, v40, v50, vcc
	global_store_dword v[42:43], v40, off
	s_branch .LBB1_8
.LBB1_33:
	s_endpgm
	.section	.rodata,"a",@progbits
	.p2align	6, 0x0
	.amdhsa_kernel _ZN2at6native12_GLOBAL__N_125multi_tensor_apply_kernelINS1_18TensorListMetadataILi4EEENS1_20TernaryOpListFunctorIfLi4ELi3ELi3EEEJNS0_11LerpFunctorIfEEEEEvT_T0_DpT1_
		.amdhsa_group_segment_fixed_size 0
		.amdhsa_private_segment_fixed_size 0
		.amdhsa_kernarg_size 3312
		.amdhsa_user_sgpr_count 2
		.amdhsa_user_sgpr_dispatch_ptr 0
		.amdhsa_user_sgpr_queue_ptr 0
		.amdhsa_user_sgpr_kernarg_segment_ptr 1
		.amdhsa_user_sgpr_dispatch_id 0
		.amdhsa_user_sgpr_kernarg_preload_length 0
		.amdhsa_user_sgpr_kernarg_preload_offset 0
		.amdhsa_user_sgpr_private_segment_size 0
		.amdhsa_uses_dynamic_stack 0
		.amdhsa_enable_private_segment 0
		.amdhsa_system_sgpr_workgroup_id_x 1
		.amdhsa_system_sgpr_workgroup_id_y 0
		.amdhsa_system_sgpr_workgroup_id_z 0
		.amdhsa_system_sgpr_workgroup_info 0
		.amdhsa_system_vgpr_workitem_id 0
		.amdhsa_next_free_vgpr 58
		.amdhsa_next_free_sgpr 36
		.amdhsa_accum_offset 60
		.amdhsa_reserve_vcc 1
		.amdhsa_float_round_mode_32 0
		.amdhsa_float_round_mode_16_64 0
		.amdhsa_float_denorm_mode_32 3
		.amdhsa_float_denorm_mode_16_64 3
		.amdhsa_dx10_clamp 1
		.amdhsa_ieee_mode 1
		.amdhsa_fp16_overflow 0
		.amdhsa_tg_split 0
		.amdhsa_exception_fp_ieee_invalid_op 0
		.amdhsa_exception_fp_denorm_src 0
		.amdhsa_exception_fp_ieee_div_zero 0
		.amdhsa_exception_fp_ieee_overflow 0
		.amdhsa_exception_fp_ieee_underflow 0
		.amdhsa_exception_fp_ieee_inexact 0
		.amdhsa_exception_int_div_zero 0
	.end_amdhsa_kernel
	.section	.text._ZN2at6native12_GLOBAL__N_125multi_tensor_apply_kernelINS1_18TensorListMetadataILi4EEENS1_20TernaryOpListFunctorIfLi4ELi3ELi3EEEJNS0_11LerpFunctorIfEEEEEvT_T0_DpT1_,"axG",@progbits,_ZN2at6native12_GLOBAL__N_125multi_tensor_apply_kernelINS1_18TensorListMetadataILi4EEENS1_20TernaryOpListFunctorIfLi4ELi3ELi3EEEJNS0_11LerpFunctorIfEEEEEvT_T0_DpT1_,comdat
.Lfunc_end1:
	.size	_ZN2at6native12_GLOBAL__N_125multi_tensor_apply_kernelINS1_18TensorListMetadataILi4EEENS1_20TernaryOpListFunctorIfLi4ELi3ELi3EEEJNS0_11LerpFunctorIfEEEEEvT_T0_DpT1_, .Lfunc_end1-_ZN2at6native12_GLOBAL__N_125multi_tensor_apply_kernelINS1_18TensorListMetadataILi4EEENS1_20TernaryOpListFunctorIfLi4ELi3ELi3EEEJNS0_11LerpFunctorIfEEEEEvT_T0_DpT1_
                                        ; -- End function
	.set _ZN2at6native12_GLOBAL__N_125multi_tensor_apply_kernelINS1_18TensorListMetadataILi4EEENS1_20TernaryOpListFunctorIfLi4ELi3ELi3EEEJNS0_11LerpFunctorIfEEEEEvT_T0_DpT1_.num_vgpr, 58
	.set _ZN2at6native12_GLOBAL__N_125multi_tensor_apply_kernelINS1_18TensorListMetadataILi4EEENS1_20TernaryOpListFunctorIfLi4ELi3ELi3EEEJNS0_11LerpFunctorIfEEEEEvT_T0_DpT1_.num_agpr, 0
	.set _ZN2at6native12_GLOBAL__N_125multi_tensor_apply_kernelINS1_18TensorListMetadataILi4EEENS1_20TernaryOpListFunctorIfLi4ELi3ELi3EEEJNS0_11LerpFunctorIfEEEEEvT_T0_DpT1_.numbered_sgpr, 36
	.set _ZN2at6native12_GLOBAL__N_125multi_tensor_apply_kernelINS1_18TensorListMetadataILi4EEENS1_20TernaryOpListFunctorIfLi4ELi3ELi3EEEJNS0_11LerpFunctorIfEEEEEvT_T0_DpT1_.num_named_barrier, 0
	.set _ZN2at6native12_GLOBAL__N_125multi_tensor_apply_kernelINS1_18TensorListMetadataILi4EEENS1_20TernaryOpListFunctorIfLi4ELi3ELi3EEEJNS0_11LerpFunctorIfEEEEEvT_T0_DpT1_.private_seg_size, 0
	.set _ZN2at6native12_GLOBAL__N_125multi_tensor_apply_kernelINS1_18TensorListMetadataILi4EEENS1_20TernaryOpListFunctorIfLi4ELi3ELi3EEEJNS0_11LerpFunctorIfEEEEEvT_T0_DpT1_.uses_vcc, 1
	.set _ZN2at6native12_GLOBAL__N_125multi_tensor_apply_kernelINS1_18TensorListMetadataILi4EEENS1_20TernaryOpListFunctorIfLi4ELi3ELi3EEEJNS0_11LerpFunctorIfEEEEEvT_T0_DpT1_.uses_flat_scratch, 0
	.set _ZN2at6native12_GLOBAL__N_125multi_tensor_apply_kernelINS1_18TensorListMetadataILi4EEENS1_20TernaryOpListFunctorIfLi4ELi3ELi3EEEJNS0_11LerpFunctorIfEEEEEvT_T0_DpT1_.has_dyn_sized_stack, 0
	.set _ZN2at6native12_GLOBAL__N_125multi_tensor_apply_kernelINS1_18TensorListMetadataILi4EEENS1_20TernaryOpListFunctorIfLi4ELi3ELi3EEEJNS0_11LerpFunctorIfEEEEEvT_T0_DpT1_.has_recursion, 0
	.set _ZN2at6native12_GLOBAL__N_125multi_tensor_apply_kernelINS1_18TensorListMetadataILi4EEENS1_20TernaryOpListFunctorIfLi4ELi3ELi3EEEJNS0_11LerpFunctorIfEEEEEvT_T0_DpT1_.has_indirect_call, 0
	.section	.AMDGPU.csdata,"",@progbits
; Kernel info:
; codeLenInByte = 1796
; TotalNumSgprs: 42
; NumVgprs: 58
; NumAgprs: 0
; TotalNumVgprs: 58
; ScratchSize: 0
; MemoryBound: 0
; FloatMode: 240
; IeeeMode: 1
; LDSByteSize: 0 bytes/workgroup (compile time only)
; SGPRBlocks: 5
; VGPRBlocks: 7
; NumSGPRsForWavesPerEU: 42
; NumVGPRsForWavesPerEU: 58
; AccumOffset: 60
; Occupancy: 8
; WaveLimiterHint : 0
; COMPUTE_PGM_RSRC2:SCRATCH_EN: 0
; COMPUTE_PGM_RSRC2:USER_SGPR: 2
; COMPUTE_PGM_RSRC2:TRAP_HANDLER: 0
; COMPUTE_PGM_RSRC2:TGID_X_EN: 1
; COMPUTE_PGM_RSRC2:TGID_Y_EN: 0
; COMPUTE_PGM_RSRC2:TGID_Z_EN: 0
; COMPUTE_PGM_RSRC2:TIDIG_COMP_CNT: 0
; COMPUTE_PGM_RSRC3_GFX90A:ACCUM_OFFSET: 14
; COMPUTE_PGM_RSRC3_GFX90A:TG_SPLIT: 0
	.section	.text._ZN2at6native12_GLOBAL__N_125multi_tensor_apply_kernelINS1_18TensorListMetadataILi4EEENS1_20TernaryOpListFunctorIN3c107complexIdEELi4ELi3ELi3EEEJNS0_11LerpFunctorIS8_EEEEEvT_T0_DpT1_,"axG",@progbits,_ZN2at6native12_GLOBAL__N_125multi_tensor_apply_kernelINS1_18TensorListMetadataILi4EEENS1_20TernaryOpListFunctorIN3c107complexIdEELi4ELi3ELi3EEEJNS0_11LerpFunctorIS8_EEEEEvT_T0_DpT1_,comdat
	.globl	_ZN2at6native12_GLOBAL__N_125multi_tensor_apply_kernelINS1_18TensorListMetadataILi4EEENS1_20TernaryOpListFunctorIN3c107complexIdEELi4ELi3ELi3EEEJNS0_11LerpFunctorIS8_EEEEEvT_T0_DpT1_ ; -- Begin function _ZN2at6native12_GLOBAL__N_125multi_tensor_apply_kernelINS1_18TensorListMetadataILi4EEENS1_20TernaryOpListFunctorIN3c107complexIdEELi4ELi3ELi3EEEJNS0_11LerpFunctorIS8_EEEEEvT_T0_DpT1_
	.p2align	8
	.type	_ZN2at6native12_GLOBAL__N_125multi_tensor_apply_kernelINS1_18TensorListMetadataILi4EEENS1_20TernaryOpListFunctorIN3c107complexIdEELi4ELi3ELi3EEEJNS0_11LerpFunctorIS8_EEEEEvT_T0_DpT1_,@function
_ZN2at6native12_GLOBAL__N_125multi_tensor_apply_kernelINS1_18TensorListMetadataILi4EEENS1_20TernaryOpListFunctorIN3c107complexIdEELi4ELi3ELi3EEEJNS0_11LerpFunctorIS8_EEEEEvT_T0_DpT1_: ; @_ZN2at6native12_GLOBAL__N_125multi_tensor_apply_kernelINS1_18TensorListMetadataILi4EEENS1_20TernaryOpListFunctorIN3c107complexIdEELi4ELi3ELi3EEEJNS0_11LerpFunctorIS8_EEEEEvT_T0_DpT1_
; %bb.0:
	v_mov_b32_e32 v1, s2
	global_load_ubyte v1, v1, s[0:1] offset:1440
	s_add_u32 s3, s0, s2
	s_mul_hi_u32 s4, s2, 3
	s_mul_i32 s2, s2, 3
	s_addc_u32 s6, s1, 0
	s_add_u32 s2, s3, s2
	s_addc_u32 s3, s6, s4
	s_load_dword s2, s[2:3], 0x6e0
	s_mov_b32 s5, 0
	s_mov_b32 s7, s5
	s_waitcnt vmcnt(0)
	v_readfirstlane_b32 s3, v1
	s_lshl_b32 s4, s3, 3
	s_load_dwordx2 s[16:17], s[0:1], s4 offset:0x480
	s_waitcnt lgkmcnt(0)
	s_ashr_i32 s3, s2, 31
	s_load_dwordx2 s[8:9], s[0:1], s4 offset:0x0
	s_load_dwordx2 s[10:11], s[0:1], s4 offset:0x120
	;; [unrolled: 1-line block ×4, first 2 shown]
	s_lshl_b64 s[18:19], s[2:3], 20
	s_waitcnt lgkmcnt(0)
	s_add_u32 s8, s8, s18
	s_addc_u32 s9, s9, s19
	s_add_u32 s10, s10, s18
	s_addc_u32 s11, s11, s19
	s_and_b32 s4, s10, 63
	s_add_u32 s12, s12, s18
	s_addc_u32 s13, s13, s19
	s_add_u32 s14, s14, s18
	s_addc_u32 s15, s15, s19
	s_or_b32 s6, s14, s12
	s_and_b32 s6, s6, 63
	s_cmp_lg_u32 s6, 0
	s_cselect_b64 s[18:19], -1, 0
	s_lshl_b64 s[2:3], s[2:3], 16
	s_and_b32 s6, s8, 63
	s_cmp_lg_u64 s[4:5], 0
	s_cselect_b64 s[20:21], -1, 0
	s_or_b64 s[18:19], s[18:19], s[20:21]
	s_sub_u32 s2, s16, s2
	s_subb_u32 s3, s17, s3
	s_and_b32 s4, s16, 3
	s_or_b64 s[4:5], s[6:7], s[4:5]
	s_cmp_lg_u64 s[4:5], 0
	s_cselect_b64 s[4:5], -1, 0
	s_or_b64 s[4:5], s[18:19], s[4:5]
	s_andn2_b64 vcc, exec, s[4:5]
	s_mov_b64 s[4:5], -1
	s_cbranch_vccz .LBB2_21
; %bb.1:
	v_mov_b64_e32 v[2:3], 0x10000
	v_cmp_lt_i64_e32 vcc, s[2:3], v[2:3]
	s_and_b64 s[4:5], vcc, exec
	v_mov_b32_e32 v55, 0
	s_cselect_b32 s5, s3, 0
	s_cselect_b32 s4, s2, 0x10000
	v_lshlrev_b32_e32 v54, 2, v0
	v_cmp_gt_i64_e32 vcc, s[4:5], v[54:55]
	s_and_saveexec_b64 s[6:7], vcc
	s_cbranch_execz .LBB2_20
; %bb.2:
	s_load_dword s16, s[0:1], 0xbfc
	v_mov_b32_e32 v1, v55
	s_mov_b32 s20, 0
	s_mov_b32 s17, 0
	v_lshlrev_b32_e32 v54, 6, v0
	s_waitcnt lgkmcnt(0)
	s_and_b32 s16, s16, 0xffff
	s_mov_b64 s[18:19], 0
	s_lshl_b32 s33, s16, 6
	s_mov_b32 s21, 0x3fd00000
	s_mov_b64 s[22:23], s[10:11]
	s_mov_b64 s[24:25], s[12:13]
	;; [unrolled: 1-line block ×4, first 2 shown]
	v_mov_b64_e32 v[56:57], v[0:1]
	s_branch .LBB2_4
.LBB2_3:                                ;   in Loop: Header=BB2_4 Depth=1
	s_or_b64 exec, exec, s[30:31]
	v_lshl_add_u64 v[2:3], s[28:29], 0, v[54:55]
	s_add_u32 s28, s28, s33
	s_addc_u32 s29, s29, 0
	s_add_u32 s26, s26, s33
	s_addc_u32 s27, s27, 0
	s_add_u32 s24, s24, s33
	v_lshl_add_u64 v[56:57], v[56:57], 0, s[16:17]
	s_addc_u32 s25, s25, 0
	v_lshlrev_b64 v[4:5], 2, v[56:57]
	s_add_u32 s22, s22, s33
	s_addc_u32 s23, s23, 0
	v_cmp_le_i64_e32 vcc, s[4:5], v[4:5]
	s_or_b64 s[18:19], vcc, s[18:19]
	global_store_dwordx4 v[2:3], v[10:13], off
	global_store_dwordx4 v[2:3], v[26:29], off offset:16
	global_store_dwordx4 v[2:3], v[34:37], off offset:32
	;; [unrolled: 1-line block ×3, first 2 shown]
	s_andn2_b64 exec, exec, s[18:19]
	s_cbranch_execz .LBB2_20
.LBB2_4:                                ; =>This Inner Loop Header: Depth=1
	v_lshl_add_u64 v[6:7], s[26:27], 0, v[54:55]
	global_load_dwordx4 v[2:5], v[6:7], off offset:48
	global_load_dwordx4 v[18:21], v[6:7], off offset:32
	;; [unrolled: 1-line block ×3, first 2 shown]
	global_load_dwordx4 v[26:29], v[6:7], off
	v_lshl_add_u64 v[12:13], s[24:25], 0, v[54:55]
	v_lshl_add_u64 v[10:11], s[22:23], 0, v[54:55]
	global_load_dwordx4 v[38:41], v[12:13], off offset:16
	global_load_dwordx4 v[46:49], v[12:13], off
	global_load_dwordx4 v[42:45], v[10:11], off offset:16
	global_load_dwordx4 v[50:53], v[10:11], off
	global_load_dwordx4 v[14:17], v[10:11], off offset:48
	global_load_dwordx4 v[30:33], v[10:11], off offset:32
	;; [unrolled: 1-line block ×4, first 2 shown]
	s_waitcnt vmcnt(6)
	v_mul_f64 v[10:11], v[48:49], v[48:49]
	v_fmac_f64_e32 v[10:11], v[46:47], v[46:47]
	v_cmp_ngt_f64_e32 vcc, s[20:21], v[10:11]
	s_waitcnt vmcnt(4)
	v_add_f64 v[60:61], v[50:51], -v[26:27]
	v_add_f64 v[58:59], v[52:53], -v[28:29]
                                        ; implicit-def: $vgpr12_vgpr13
	s_and_saveexec_b64 s[30:31], vcc
	s_xor_b64 s[30:31], exec, s[30:31]
; %bb.5:                                ;   in Loop: Header=BB2_4 Depth=1
	v_add_f64 v[12:13], -v[48:49], 0
	v_add_f64 v[10:11], -v[46:47], 1.0
	v_mul_f64 v[26:27], v[58:59], v[12:13]
	v_mul_f64 v[12:13], v[60:61], v[12:13]
	v_fma_f64 v[26:27], v[60:61], v[10:11], -v[26:27]
	v_fmac_f64_e32 v[12:13], v[58:59], v[10:11]
	v_add_f64 v[10:11], v[50:51], -v[26:27]
	v_add_f64 v[12:13], v[52:53], -v[12:13]
                                        ; implicit-def: $vgpr58_vgpr59
                                        ; implicit-def: $vgpr48_vgpr49
                                        ; implicit-def: $vgpr60_vgpr61
                                        ; implicit-def: $vgpr26_vgpr27
; %bb.6:                                ;   in Loop: Header=BB2_4 Depth=1
	s_andn2_saveexec_b64 s[30:31], s[30:31]
; %bb.7:                                ;   in Loop: Header=BB2_4 Depth=1
	v_mul_f64 v[10:11], v[58:59], v[48:49]
	v_mul_f64 v[12:13], v[60:61], v[48:49]
	v_fma_f64 v[10:11], v[60:61], v[46:47], -v[10:11]
	v_fmac_f64_e32 v[12:13], v[58:59], v[46:47]
	v_add_f64 v[10:11], v[26:27], v[10:11]
	v_add_f64 v[12:13], v[28:29], v[12:13]
; %bb.8:                                ;   in Loop: Header=BB2_4 Depth=1
	s_or_b64 exec, exec, s[30:31]
	v_mul_f64 v[26:27], v[40:41], v[40:41]
	v_fmac_f64_e32 v[26:27], v[38:39], v[38:39]
	v_cmp_ngt_f64_e32 vcc, s[20:21], v[26:27]
	v_add_f64 v[48:49], v[42:43], -v[34:35]
	v_add_f64 v[46:47], v[44:45], -v[36:37]
                                        ; implicit-def: $vgpr28_vgpr29
	s_and_saveexec_b64 s[30:31], vcc
	s_xor_b64 s[30:31], exec, s[30:31]
; %bb.9:                                ;   in Loop: Header=BB2_4 Depth=1
	v_add_f64 v[28:29], -v[40:41], 0
	v_add_f64 v[26:27], -v[38:39], 1.0
	v_mul_f64 v[34:35], v[46:47], v[28:29]
	v_mul_f64 v[28:29], v[48:49], v[28:29]
	v_fma_f64 v[34:35], v[48:49], v[26:27], -v[34:35]
	v_fmac_f64_e32 v[28:29], v[46:47], v[26:27]
	v_add_f64 v[26:27], v[42:43], -v[34:35]
	v_add_f64 v[28:29], v[44:45], -v[28:29]
                                        ; implicit-def: $vgpr46_vgpr47
                                        ; implicit-def: $vgpr40_vgpr41
                                        ; implicit-def: $vgpr48_vgpr49
                                        ; implicit-def: $vgpr34_vgpr35
; %bb.10:                               ;   in Loop: Header=BB2_4 Depth=1
	s_andn2_saveexec_b64 s[30:31], s[30:31]
; %bb.11:                               ;   in Loop: Header=BB2_4 Depth=1
	v_mul_f64 v[26:27], v[46:47], v[40:41]
	v_mul_f64 v[28:29], v[48:49], v[40:41]
	v_fma_f64 v[26:27], v[48:49], v[38:39], -v[26:27]
	v_fmac_f64_e32 v[28:29], v[46:47], v[38:39]
	v_add_f64 v[26:27], v[34:35], v[26:27]
	v_add_f64 v[28:29], v[36:37], v[28:29]
; %bb.12:                               ;   in Loop: Header=BB2_4 Depth=1
	s_or_b64 exec, exec, s[30:31]
	s_waitcnt vmcnt(0)
	v_mul_f64 v[34:35], v[24:25], v[24:25]
	v_fmac_f64_e32 v[34:35], v[22:23], v[22:23]
	v_cmp_ngt_f64_e32 vcc, s[20:21], v[34:35]
	v_add_f64 v[40:41], v[30:31], -v[18:19]
	v_add_f64 v[38:39], v[32:33], -v[20:21]
                                        ; implicit-def: $vgpr36_vgpr37
	s_and_saveexec_b64 s[30:31], vcc
	s_xor_b64 s[30:31], exec, s[30:31]
; %bb.13:                               ;   in Loop: Header=BB2_4 Depth=1
	v_add_f64 v[20:21], -v[24:25], 0
	v_add_f64 v[18:19], -v[22:23], 1.0
	v_mul_f64 v[22:23], v[38:39], v[20:21]
	v_mul_f64 v[20:21], v[40:41], v[20:21]
	v_fma_f64 v[22:23], v[40:41], v[18:19], -v[22:23]
	v_fmac_f64_e32 v[20:21], v[38:39], v[18:19]
	v_add_f64 v[34:35], v[30:31], -v[22:23]
	v_add_f64 v[36:37], v[32:33], -v[20:21]
                                        ; implicit-def: $vgpr38_vgpr39
                                        ; implicit-def: $vgpr24_vgpr25
                                        ; implicit-def: $vgpr40_vgpr41
                                        ; implicit-def: $vgpr18_vgpr19
; %bb.14:                               ;   in Loop: Header=BB2_4 Depth=1
	s_andn2_saveexec_b64 s[30:31], s[30:31]
; %bb.15:                               ;   in Loop: Header=BB2_4 Depth=1
	v_mul_f64 v[30:31], v[38:39], v[24:25]
	v_mul_f64 v[24:25], v[40:41], v[24:25]
	v_fma_f64 v[30:31], v[40:41], v[22:23], -v[30:31]
	v_fmac_f64_e32 v[24:25], v[38:39], v[22:23]
	v_add_f64 v[34:35], v[18:19], v[30:31]
	v_add_f64 v[36:37], v[20:21], v[24:25]
; %bb.16:                               ;   in Loop: Header=BB2_4 Depth=1
	s_or_b64 exec, exec, s[30:31]
	v_mul_f64 v[18:19], v[8:9], v[8:9]
	v_fmac_f64_e32 v[18:19], v[6:7], v[6:7]
	v_cmp_ngt_f64_e32 vcc, s[20:21], v[18:19]
	v_add_f64 v[24:25], v[14:15], -v[2:3]
	v_add_f64 v[22:23], v[16:17], -v[4:5]
                                        ; implicit-def: $vgpr20_vgpr21
	s_and_saveexec_b64 s[30:31], vcc
	s_xor_b64 s[30:31], exec, s[30:31]
; %bb.17:                               ;   in Loop: Header=BB2_4 Depth=1
	v_add_f64 v[4:5], -v[8:9], 0
	v_add_f64 v[2:3], -v[6:7], 1.0
	v_mul_f64 v[6:7], v[22:23], v[4:5]
	v_mul_f64 v[4:5], v[24:25], v[4:5]
	v_fma_f64 v[6:7], v[24:25], v[2:3], -v[6:7]
	v_fmac_f64_e32 v[4:5], v[22:23], v[2:3]
	v_add_f64 v[18:19], v[14:15], -v[6:7]
	v_add_f64 v[20:21], v[16:17], -v[4:5]
                                        ; implicit-def: $vgpr22_vgpr23
                                        ; implicit-def: $vgpr8_vgpr9
                                        ; implicit-def: $vgpr24_vgpr25
                                        ; implicit-def: $vgpr2_vgpr3
; %bb.18:                               ;   in Loop: Header=BB2_4 Depth=1
	s_andn2_saveexec_b64 s[30:31], s[30:31]
	s_cbranch_execz .LBB2_3
; %bb.19:                               ;   in Loop: Header=BB2_4 Depth=1
	v_mul_f64 v[14:15], v[22:23], v[8:9]
	v_mul_f64 v[8:9], v[24:25], v[8:9]
	v_fma_f64 v[14:15], v[24:25], v[6:7], -v[14:15]
	v_fmac_f64_e32 v[8:9], v[22:23], v[6:7]
	v_add_f64 v[18:19], v[2:3], v[14:15]
	v_add_f64 v[20:21], v[4:5], v[8:9]
	s_branch .LBB2_3
.LBB2_20:
	s_or_b64 exec, exec, s[6:7]
	s_mov_b64 s[4:5], 0
.LBB2_21:
	s_andn2_b64 vcc, exec, s[4:5]
	s_cbranch_vccnz .LBB2_65
; %bb.22:
	v_cmp_lt_i64_e64 s[4:5], s[2:3], 1
	s_and_b64 vcc, exec, s[4:5]
	s_cbranch_vccnz .LBB2_65
; %bb.23:
	s_load_dword s4, s[0:1], 0xbfc
	v_mov_b64_e32 v[2:3], 0x10000
	v_cmp_lt_i64_e32 vcc, s[2:3], v[2:3]
	s_and_b64 s[0:1], vcc, exec
	s_cselect_b32 s19, s3, 0
	s_cselect_b32 s18, s2, 0x10000
	s_waitcnt lgkmcnt(0)
	s_and_b32 s16, s4, 0xffff
	v_cmp_lt_u64_e32 vcc, s[2:3], v[2:3]
	s_mov_b32 s17, 0
	s_and_b64 s[0:1], vcc, exec
	s_mov_b32 s28, 0
	v_mov_b32_e32 v1, 0
	s_cselect_b32 s21, s3, 0
	s_cselect_b32 s20, s2, 0x10000
	s_lshl_b32 s22, s16, 1
	s_mov_b32 s23, s17
	s_mul_i32 s24, s16, 3
	s_mov_b32 s25, s17
	s_lshl_b32 s30, s16, 2
	s_mov_b64 s[26:27], 0
	s_mov_b32 s29, 0x3fd00000
	s_branch .LBB2_25
.LBB2_24:                               ;   in Loop: Header=BB2_25 Depth=1
	s_or_b64 exec, exec, s[0:1]
	s_add_u32 s26, s26, s30
	s_addc_u32 s27, s27, 0
	v_mov_b64_e32 v[2:3], s[18:19]
	v_cmp_ge_i64_e32 vcc, s[26:27], v[2:3]
	s_cbranch_vccnz .LBB2_65
.LBB2_25:                               ; =>This Inner Loop Header: Depth=1
	v_lshl_add_u64 v[54:55], s[26:27], 0, v[0:1]
	v_cmp_gt_u64_e32 vcc, s[20:21], v[54:55]
	v_mov_b64_e32 v[24:25], 0
	v_mov_b64_e32 v[48:49], 0
	;; [unrolled: 1-line block ×5, first 2 shown]
	s_and_saveexec_b64 s[0:1], vcc
	s_cbranch_execz .LBB2_27
; %bb.26:                               ;   in Loop: Header=BB2_25 Depth=1
	v_lshlrev_b64 v[2:3], 4, v[54:55]
	v_lshl_add_u64 v[4:5], s[10:11], 0, v[2:3]
	v_lshl_add_u64 v[2:3], s[8:9], 0, v[2:3]
	global_load_dwordx4 v[30:33], v[2:3], off
	global_load_dwordx4 v[46:49], v[4:5], off
.LBB2_27:                               ;   in Loop: Header=BB2_25 Depth=1
	s_or_b64 exec, exec, s[0:1]
	v_mov_b64_e32 v[22:23], 0
	s_and_saveexec_b64 s[0:1], vcc
	s_cbranch_execz .LBB2_29
; %bb.28:                               ;   in Loop: Header=BB2_25 Depth=1
	v_lshl_add_u64 v[2:3], v[54:55], 4, s[12:13]
	global_load_dwordx4 v[22:25], v[2:3], off
.LBB2_29:                               ;   in Loop: Header=BB2_25 Depth=1
	s_or_b64 exec, exec, s[0:1]
	v_lshl_add_u64 v[56:57], v[54:55], 0, s[16:17]
	v_cmp_gt_u64_e64 s[0:1], s[20:21], v[56:57]
	v_mov_b64_e32 v[12:13], 0
	v_mov_b64_e32 v[44:45], 0
	v_mov_b64_e32 v[42:43], 0
	v_mov_b64_e32 v[28:29], 0
	v_mov_b64_e32 v[26:27], 0
	s_and_saveexec_b64 s[2:3], s[0:1]
	s_cbranch_execz .LBB2_31
; %bb.30:                               ;   in Loop: Header=BB2_25 Depth=1
	v_lshlrev_b64 v[2:3], 4, v[56:57]
	v_lshl_add_u64 v[4:5], s[10:11], 0, v[2:3]
	v_lshl_add_u64 v[2:3], s[8:9], 0, v[2:3]
	global_load_dwordx4 v[26:29], v[2:3], off
	global_load_dwordx4 v[42:45], v[4:5], off
.LBB2_31:                               ;   in Loop: Header=BB2_25 Depth=1
	s_or_b64 exec, exec, s[2:3]
	v_mov_b64_e32 v[10:11], 0
	s_and_saveexec_b64 s[2:3], s[0:1]
	s_cbranch_execz .LBB2_33
; %bb.32:                               ;   in Loop: Header=BB2_25 Depth=1
	v_lshl_add_u64 v[2:3], v[56:57], 4, s[12:13]
	global_load_dwordx4 v[10:13], v[2:3], off
.LBB2_33:                               ;   in Loop: Header=BB2_25 Depth=1
	s_or_b64 exec, exec, s[2:3]
	v_lshl_add_u64 v[58:59], v[54:55], 0, s[22:23]
	v_cmp_gt_u64_e64 s[2:3], s[20:21], v[58:59]
	v_mov_b64_e32 v[8:9], 0
	v_mov_b64_e32 v[40:41], 0
	v_mov_b64_e32 v[38:39], 0
	v_mov_b64_e32 v[20:21], 0
	v_mov_b64_e32 v[18:19], 0
	s_and_saveexec_b64 s[4:5], s[2:3]
	s_cbranch_execz .LBB2_35
; %bb.34:                               ;   in Loop: Header=BB2_25 Depth=1
	v_lshlrev_b64 v[2:3], 4, v[58:59]
	v_lshl_add_u64 v[4:5], s[10:11], 0, v[2:3]
	v_lshl_add_u64 v[2:3], s[8:9], 0, v[2:3]
	global_load_dwordx4 v[18:21], v[2:3], off
	global_load_dwordx4 v[38:41], v[4:5], off
.LBB2_35:                               ;   in Loop: Header=BB2_25 Depth=1
	s_or_b64 exec, exec, s[4:5]
	v_mov_b64_e32 v[6:7], 0
	s_and_saveexec_b64 s[4:5], s[2:3]
	;; [unrolled: 25-line block ×3, first 2 shown]
	s_cbranch_execz .LBB2_41
; %bb.40:                               ;   in Loop: Header=BB2_25 Depth=1
	v_lshl_add_u64 v[2:3], v[60:61], 4, s[12:13]
	global_load_dwordx4 v[2:5], v[2:3], off
.LBB2_41:                               ;   in Loop: Header=BB2_25 Depth=1
	s_or_b64 exec, exec, s[6:7]
	s_waitcnt vmcnt(0)
	v_mul_f64 v[50:51], v[22:23], v[22:23]
	v_fmac_f64_e32 v[50:51], v[24:25], v[24:25]
	v_cmp_ngt_f64_e64 s[6:7], s[28:29], v[50:51]
	v_add_f64 v[62:63], v[46:47], -v[30:31]
	v_add_f64 v[64:65], v[48:49], -v[32:33]
                                        ; implicit-def: $vgpr52_vgpr53
	s_and_saveexec_b64 s[34:35], s[6:7]
	s_xor_b64 s[6:7], exec, s[34:35]
; %bb.42:                               ;   in Loop: Header=BB2_25 Depth=1
	v_add_f64 v[24:25], -v[24:25], 0
	v_add_f64 v[22:23], -v[22:23], 1.0
	v_mul_f64 v[30:31], v[64:65], v[24:25]
	v_fma_f64 v[30:31], v[62:63], v[22:23], -v[30:31]
	v_mul_f64 v[22:23], v[64:65], v[22:23]
	v_fmac_f64_e32 v[22:23], v[62:63], v[24:25]
	v_add_f64 v[50:51], v[46:47], -v[30:31]
	v_add_f64 v[52:53], v[48:49], -v[22:23]
                                        ; implicit-def: $vgpr64_vgpr65
                                        ; implicit-def: $vgpr24_vgpr25
                                        ; implicit-def: $vgpr62_vgpr63
                                        ; implicit-def: $vgpr30_vgpr31
; %bb.43:                               ;   in Loop: Header=BB2_25 Depth=1
	s_andn2_saveexec_b64 s[6:7], s[6:7]
; %bb.44:                               ;   in Loop: Header=BB2_25 Depth=1
	v_mul_f64 v[46:47], v[64:65], v[24:25]
	v_fma_f64 v[46:47], v[62:63], v[22:23], -v[46:47]
	v_mul_f64 v[22:23], v[64:65], v[22:23]
	v_fmac_f64_e32 v[22:23], v[62:63], v[24:25]
	v_add_f64 v[50:51], v[30:31], v[46:47]
	v_add_f64 v[52:53], v[32:33], v[22:23]
; %bb.45:                               ;   in Loop: Header=BB2_25 Depth=1
	s_or_b64 exec, exec, s[6:7]
	v_mul_f64 v[22:23], v[10:11], v[10:11]
	v_fmac_f64_e32 v[22:23], v[12:13], v[12:13]
	v_cmp_ngt_f64_e64 s[6:7], s[28:29], v[22:23]
	v_add_f64 v[30:31], v[42:43], -v[26:27]
	v_add_f64 v[32:33], v[44:45], -v[28:29]
                                        ; implicit-def: $vgpr24_vgpr25
	s_and_saveexec_b64 s[34:35], s[6:7]
	s_xor_b64 s[6:7], exec, s[34:35]
; %bb.46:                               ;   in Loop: Header=BB2_25 Depth=1
	v_add_f64 v[12:13], -v[12:13], 0
	v_add_f64 v[10:11], -v[10:11], 1.0
	v_mul_f64 v[22:23], v[32:33], v[12:13]
	v_fma_f64 v[22:23], v[30:31], v[10:11], -v[22:23]
	v_mul_f64 v[10:11], v[32:33], v[10:11]
	v_fmac_f64_e32 v[10:11], v[30:31], v[12:13]
	v_add_f64 v[22:23], v[42:43], -v[22:23]
	v_add_f64 v[24:25], v[44:45], -v[10:11]
                                        ; implicit-def: $vgpr32_vgpr33
                                        ; implicit-def: $vgpr12_vgpr13
                                        ; implicit-def: $vgpr30_vgpr31
                                        ; implicit-def: $vgpr26_vgpr27
; %bb.47:                               ;   in Loop: Header=BB2_25 Depth=1
	s_andn2_saveexec_b64 s[6:7], s[6:7]
; %bb.48:                               ;   in Loop: Header=BB2_25 Depth=1
	v_mul_f64 v[22:23], v[32:33], v[12:13]
	v_fma_f64 v[22:23], v[30:31], v[10:11], -v[22:23]
	v_mul_f64 v[10:11], v[32:33], v[10:11]
	v_fmac_f64_e32 v[10:11], v[30:31], v[12:13]
	v_add_f64 v[22:23], v[26:27], v[22:23]
	v_add_f64 v[24:25], v[28:29], v[10:11]
; %bb.49:                               ;   in Loop: Header=BB2_25 Depth=1
	s_or_b64 exec, exec, s[6:7]
	v_mul_f64 v[10:11], v[6:7], v[6:7]
	v_fmac_f64_e32 v[10:11], v[8:9], v[8:9]
	v_cmp_ngt_f64_e64 s[6:7], s[28:29], v[10:11]
	v_add_f64 v[26:27], v[38:39], -v[18:19]
	v_add_f64 v[28:29], v[40:41], -v[20:21]
                                        ; implicit-def: $vgpr12_vgpr13
	s_and_saveexec_b64 s[34:35], s[6:7]
	s_xor_b64 s[6:7], exec, s[34:35]
; %bb.50:                               ;   in Loop: Header=BB2_25 Depth=1
	v_add_f64 v[8:9], -v[8:9], 0
	v_add_f64 v[6:7], -v[6:7], 1.0
	v_mul_f64 v[10:11], v[28:29], v[8:9]
	v_fma_f64 v[10:11], v[26:27], v[6:7], -v[10:11]
	v_mul_f64 v[6:7], v[28:29], v[6:7]
	v_fmac_f64_e32 v[6:7], v[26:27], v[8:9]
	v_add_f64 v[10:11], v[38:39], -v[10:11]
	v_add_f64 v[12:13], v[40:41], -v[6:7]
                                        ; implicit-def: $vgpr28_vgpr29
                                        ; implicit-def: $vgpr8_vgpr9
                                        ; implicit-def: $vgpr26_vgpr27
                                        ; implicit-def: $vgpr18_vgpr19
; %bb.51:                               ;   in Loop: Header=BB2_25 Depth=1
	s_andn2_saveexec_b64 s[6:7], s[6:7]
; %bb.52:                               ;   in Loop: Header=BB2_25 Depth=1
	v_mul_f64 v[10:11], v[28:29], v[8:9]
	v_fma_f64 v[10:11], v[26:27], v[6:7], -v[10:11]
	v_mul_f64 v[6:7], v[28:29], v[6:7]
	v_fmac_f64_e32 v[6:7], v[26:27], v[8:9]
	v_add_f64 v[10:11], v[18:19], v[10:11]
	v_add_f64 v[12:13], v[20:21], v[6:7]
; %bb.53:                               ;   in Loop: Header=BB2_25 Depth=1
	s_or_b64 exec, exec, s[6:7]
	v_mul_f64 v[6:7], v[2:3], v[2:3]
	v_fmac_f64_e32 v[6:7], v[4:5], v[4:5]
	v_cmp_ngt_f64_e64 s[6:7], s[28:29], v[6:7]
	v_add_f64 v[18:19], v[34:35], -v[14:15]
	v_add_f64 v[20:21], v[36:37], -v[16:17]
                                        ; implicit-def: $vgpr8_vgpr9
	s_and_saveexec_b64 s[34:35], s[6:7]
	s_xor_b64 s[6:7], exec, s[34:35]
	s_cbranch_execnz .LBB2_59
; %bb.54:                               ;   in Loop: Header=BB2_25 Depth=1
	s_andn2_saveexec_b64 s[6:7], s[6:7]
	s_cbranch_execnz .LBB2_60
.LBB2_55:                               ;   in Loop: Header=BB2_25 Depth=1
	s_or_b64 exec, exec, s[6:7]
	s_and_saveexec_b64 s[6:7], vcc
	s_xor_b64 s[6:7], exec, s[6:7]
	s_cbranch_execnz .LBB2_61
.LBB2_56:                               ;   in Loop: Header=BB2_25 Depth=1
	s_or_b64 exec, exec, s[6:7]
	s_and_saveexec_b64 s[6:7], s[0:1]
	s_cbranch_execnz .LBB2_62
.LBB2_57:                               ;   in Loop: Header=BB2_25 Depth=1
	s_or_b64 exec, exec, s[6:7]
	s_and_saveexec_b64 s[0:1], s[2:3]
	s_cbranch_execnz .LBB2_63
.LBB2_58:                               ;   in Loop: Header=BB2_25 Depth=1
	s_or_b64 exec, exec, s[0:1]
	s_and_saveexec_b64 s[0:1], s[4:5]
	s_cbranch_execz .LBB2_24
	s_branch .LBB2_64
.LBB2_59:                               ;   in Loop: Header=BB2_25 Depth=1
	v_add_f64 v[4:5], -v[4:5], 0
	v_add_f64 v[2:3], -v[2:3], 1.0
	v_mul_f64 v[6:7], v[20:21], v[4:5]
	v_fma_f64 v[6:7], v[18:19], v[2:3], -v[6:7]
	v_mul_f64 v[2:3], v[20:21], v[2:3]
	v_fmac_f64_e32 v[2:3], v[18:19], v[4:5]
	v_add_f64 v[6:7], v[34:35], -v[6:7]
	v_add_f64 v[8:9], v[36:37], -v[2:3]
                                        ; implicit-def: $vgpr20_vgpr21
                                        ; implicit-def: $vgpr4_vgpr5
                                        ; implicit-def: $vgpr18_vgpr19
                                        ; implicit-def: $vgpr14_vgpr15
	s_andn2_saveexec_b64 s[6:7], s[6:7]
	s_cbranch_execz .LBB2_55
.LBB2_60:                               ;   in Loop: Header=BB2_25 Depth=1
	v_mul_f64 v[6:7], v[20:21], v[4:5]
	v_fma_f64 v[6:7], v[18:19], v[2:3], -v[6:7]
	v_mul_f64 v[2:3], v[20:21], v[2:3]
	v_fmac_f64_e32 v[2:3], v[18:19], v[4:5]
	v_add_f64 v[6:7], v[14:15], v[6:7]
	v_add_f64 v[8:9], v[16:17], v[2:3]
	s_or_b64 exec, exec, s[6:7]
	s_and_saveexec_b64 s[6:7], vcc
	s_xor_b64 s[6:7], exec, s[6:7]
	s_cbranch_execz .LBB2_56
.LBB2_61:                               ;   in Loop: Header=BB2_25 Depth=1
	v_lshl_add_u64 v[2:3], v[54:55], 4, s[14:15]
	global_store_dwordx4 v[2:3], v[50:53], off
	s_or_b64 exec, exec, s[6:7]
	s_and_saveexec_b64 s[6:7], s[0:1]
	s_cbranch_execz .LBB2_57
.LBB2_62:                               ;   in Loop: Header=BB2_25 Depth=1
	v_lshl_add_u64 v[2:3], v[56:57], 4, s[14:15]
	global_store_dwordx4 v[2:3], v[22:25], off
	s_or_b64 exec, exec, s[6:7]
	s_and_saveexec_b64 s[0:1], s[2:3]
	s_cbranch_execz .LBB2_58
.LBB2_63:                               ;   in Loop: Header=BB2_25 Depth=1
	v_lshl_add_u64 v[2:3], v[58:59], 4, s[14:15]
	global_store_dwordx4 v[2:3], v[10:13], off
	s_or_b64 exec, exec, s[0:1]
	s_and_saveexec_b64 s[0:1], s[4:5]
	s_cbranch_execz .LBB2_24
.LBB2_64:                               ;   in Loop: Header=BB2_25 Depth=1
	v_lshl_add_u64 v[2:3], v[60:61], 4, s[14:15]
	global_store_dwordx4 v[2:3], v[6:9], off
	s_branch .LBB2_24
.LBB2_65:
	s_endpgm
	.section	.rodata,"a",@progbits
	.p2align	6, 0x0
	.amdhsa_kernel _ZN2at6native12_GLOBAL__N_125multi_tensor_apply_kernelINS1_18TensorListMetadataILi4EEENS1_20TernaryOpListFunctorIN3c107complexIdEELi4ELi3ELi3EEEJNS0_11LerpFunctorIS8_EEEEEvT_T0_DpT1_
		.amdhsa_group_segment_fixed_size 0
		.amdhsa_private_segment_fixed_size 0
		.amdhsa_kernarg_size 3312
		.amdhsa_user_sgpr_count 2
		.amdhsa_user_sgpr_dispatch_ptr 0
		.amdhsa_user_sgpr_queue_ptr 0
		.amdhsa_user_sgpr_kernarg_segment_ptr 1
		.amdhsa_user_sgpr_dispatch_id 0
		.amdhsa_user_sgpr_kernarg_preload_length 0
		.amdhsa_user_sgpr_kernarg_preload_offset 0
		.amdhsa_user_sgpr_private_segment_size 0
		.amdhsa_uses_dynamic_stack 0
		.amdhsa_enable_private_segment 0
		.amdhsa_system_sgpr_workgroup_id_x 1
		.amdhsa_system_sgpr_workgroup_id_y 0
		.amdhsa_system_sgpr_workgroup_id_z 0
		.amdhsa_system_sgpr_workgroup_info 0
		.amdhsa_system_vgpr_workitem_id 0
		.amdhsa_next_free_vgpr 66
		.amdhsa_next_free_sgpr 36
		.amdhsa_accum_offset 68
		.amdhsa_reserve_vcc 1
		.amdhsa_float_round_mode_32 0
		.amdhsa_float_round_mode_16_64 0
		.amdhsa_float_denorm_mode_32 3
		.amdhsa_float_denorm_mode_16_64 3
		.amdhsa_dx10_clamp 1
		.amdhsa_ieee_mode 1
		.amdhsa_fp16_overflow 0
		.amdhsa_tg_split 0
		.amdhsa_exception_fp_ieee_invalid_op 0
		.amdhsa_exception_fp_denorm_src 0
		.amdhsa_exception_fp_ieee_div_zero 0
		.amdhsa_exception_fp_ieee_overflow 0
		.amdhsa_exception_fp_ieee_underflow 0
		.amdhsa_exception_fp_ieee_inexact 0
		.amdhsa_exception_int_div_zero 0
	.end_amdhsa_kernel
	.section	.text._ZN2at6native12_GLOBAL__N_125multi_tensor_apply_kernelINS1_18TensorListMetadataILi4EEENS1_20TernaryOpListFunctorIN3c107complexIdEELi4ELi3ELi3EEEJNS0_11LerpFunctorIS8_EEEEEvT_T0_DpT1_,"axG",@progbits,_ZN2at6native12_GLOBAL__N_125multi_tensor_apply_kernelINS1_18TensorListMetadataILi4EEENS1_20TernaryOpListFunctorIN3c107complexIdEELi4ELi3ELi3EEEJNS0_11LerpFunctorIS8_EEEEEvT_T0_DpT1_,comdat
.Lfunc_end2:
	.size	_ZN2at6native12_GLOBAL__N_125multi_tensor_apply_kernelINS1_18TensorListMetadataILi4EEENS1_20TernaryOpListFunctorIN3c107complexIdEELi4ELi3ELi3EEEJNS0_11LerpFunctorIS8_EEEEEvT_T0_DpT1_, .Lfunc_end2-_ZN2at6native12_GLOBAL__N_125multi_tensor_apply_kernelINS1_18TensorListMetadataILi4EEENS1_20TernaryOpListFunctorIN3c107complexIdEELi4ELi3ELi3EEEJNS0_11LerpFunctorIS8_EEEEEvT_T0_DpT1_
                                        ; -- End function
	.set _ZN2at6native12_GLOBAL__N_125multi_tensor_apply_kernelINS1_18TensorListMetadataILi4EEENS1_20TernaryOpListFunctorIN3c107complexIdEELi4ELi3ELi3EEEJNS0_11LerpFunctorIS8_EEEEEvT_T0_DpT1_.num_vgpr, 66
	.set _ZN2at6native12_GLOBAL__N_125multi_tensor_apply_kernelINS1_18TensorListMetadataILi4EEENS1_20TernaryOpListFunctorIN3c107complexIdEELi4ELi3ELi3EEEJNS0_11LerpFunctorIS8_EEEEEvT_T0_DpT1_.num_agpr, 0
	.set _ZN2at6native12_GLOBAL__N_125multi_tensor_apply_kernelINS1_18TensorListMetadataILi4EEENS1_20TernaryOpListFunctorIN3c107complexIdEELi4ELi3ELi3EEEJNS0_11LerpFunctorIS8_EEEEEvT_T0_DpT1_.numbered_sgpr, 36
	.set _ZN2at6native12_GLOBAL__N_125multi_tensor_apply_kernelINS1_18TensorListMetadataILi4EEENS1_20TernaryOpListFunctorIN3c107complexIdEELi4ELi3ELi3EEEJNS0_11LerpFunctorIS8_EEEEEvT_T0_DpT1_.num_named_barrier, 0
	.set _ZN2at6native12_GLOBAL__N_125multi_tensor_apply_kernelINS1_18TensorListMetadataILi4EEENS1_20TernaryOpListFunctorIN3c107complexIdEELi4ELi3ELi3EEEJNS0_11LerpFunctorIS8_EEEEEvT_T0_DpT1_.private_seg_size, 0
	.set _ZN2at6native12_GLOBAL__N_125multi_tensor_apply_kernelINS1_18TensorListMetadataILi4EEENS1_20TernaryOpListFunctorIN3c107complexIdEELi4ELi3ELi3EEEJNS0_11LerpFunctorIS8_EEEEEvT_T0_DpT1_.uses_vcc, 1
	.set _ZN2at6native12_GLOBAL__N_125multi_tensor_apply_kernelINS1_18TensorListMetadataILi4EEENS1_20TernaryOpListFunctorIN3c107complexIdEELi4ELi3ELi3EEEJNS0_11LerpFunctorIS8_EEEEEvT_T0_DpT1_.uses_flat_scratch, 0
	.set _ZN2at6native12_GLOBAL__N_125multi_tensor_apply_kernelINS1_18TensorListMetadataILi4EEENS1_20TernaryOpListFunctorIN3c107complexIdEELi4ELi3ELi3EEEJNS0_11LerpFunctorIS8_EEEEEvT_T0_DpT1_.has_dyn_sized_stack, 0
	.set _ZN2at6native12_GLOBAL__N_125multi_tensor_apply_kernelINS1_18TensorListMetadataILi4EEENS1_20TernaryOpListFunctorIN3c107complexIdEELi4ELi3ELi3EEEJNS0_11LerpFunctorIS8_EEEEEvT_T0_DpT1_.has_recursion, 0
	.set _ZN2at6native12_GLOBAL__N_125multi_tensor_apply_kernelINS1_18TensorListMetadataILi4EEENS1_20TernaryOpListFunctorIN3c107complexIdEELi4ELi3ELi3EEEJNS0_11LerpFunctorIS8_EEEEEvT_T0_DpT1_.has_indirect_call, 0
	.section	.AMDGPU.csdata,"",@progbits
; Kernel info:
; codeLenInByte = 2676
; TotalNumSgprs: 42
; NumVgprs: 66
; NumAgprs: 0
; TotalNumVgprs: 66
; ScratchSize: 0
; MemoryBound: 1
; FloatMode: 240
; IeeeMode: 1
; LDSByteSize: 0 bytes/workgroup (compile time only)
; SGPRBlocks: 5
; VGPRBlocks: 8
; NumSGPRsForWavesPerEU: 42
; NumVGPRsForWavesPerEU: 66
; AccumOffset: 68
; Occupancy: 7
; WaveLimiterHint : 0
; COMPUTE_PGM_RSRC2:SCRATCH_EN: 0
; COMPUTE_PGM_RSRC2:USER_SGPR: 2
; COMPUTE_PGM_RSRC2:TRAP_HANDLER: 0
; COMPUTE_PGM_RSRC2:TGID_X_EN: 1
; COMPUTE_PGM_RSRC2:TGID_Y_EN: 0
; COMPUTE_PGM_RSRC2:TGID_Z_EN: 0
; COMPUTE_PGM_RSRC2:TIDIG_COMP_CNT: 0
; COMPUTE_PGM_RSRC3_GFX90A:ACCUM_OFFSET: 16
; COMPUTE_PGM_RSRC3_GFX90A:TG_SPLIT: 0
	.section	.text._ZN2at6native12_GLOBAL__N_125multi_tensor_apply_kernelINS1_18TensorListMetadataILi4EEENS1_20TernaryOpListFunctorIN3c107complexIfEELi4ELi3ELi3EEEJNS0_11LerpFunctorIS8_EEEEEvT_T0_DpT1_,"axG",@progbits,_ZN2at6native12_GLOBAL__N_125multi_tensor_apply_kernelINS1_18TensorListMetadataILi4EEENS1_20TernaryOpListFunctorIN3c107complexIfEELi4ELi3ELi3EEEJNS0_11LerpFunctorIS8_EEEEEvT_T0_DpT1_,comdat
	.globl	_ZN2at6native12_GLOBAL__N_125multi_tensor_apply_kernelINS1_18TensorListMetadataILi4EEENS1_20TernaryOpListFunctorIN3c107complexIfEELi4ELi3ELi3EEEJNS0_11LerpFunctorIS8_EEEEEvT_T0_DpT1_ ; -- Begin function _ZN2at6native12_GLOBAL__N_125multi_tensor_apply_kernelINS1_18TensorListMetadataILi4EEENS1_20TernaryOpListFunctorIN3c107complexIfEELi4ELi3ELi3EEEJNS0_11LerpFunctorIS8_EEEEEvT_T0_DpT1_
	.p2align	8
	.type	_ZN2at6native12_GLOBAL__N_125multi_tensor_apply_kernelINS1_18TensorListMetadataILi4EEENS1_20TernaryOpListFunctorIN3c107complexIfEELi4ELi3ELi3EEEJNS0_11LerpFunctorIS8_EEEEEvT_T0_DpT1_,@function
_ZN2at6native12_GLOBAL__N_125multi_tensor_apply_kernelINS1_18TensorListMetadataILi4EEENS1_20TernaryOpListFunctorIN3c107complexIfEELi4ELi3ELi3EEEJNS0_11LerpFunctorIS8_EEEEEvT_T0_DpT1_: ; @_ZN2at6native12_GLOBAL__N_125multi_tensor_apply_kernelINS1_18TensorListMetadataILi4EEENS1_20TernaryOpListFunctorIN3c107complexIfEELi4ELi3ELi3EEEJNS0_11LerpFunctorIS8_EEEEEvT_T0_DpT1_
; %bb.0:
	v_mov_b32_e32 v1, s2
	global_load_ubyte v1, v1, s[0:1] offset:1440
	s_add_u32 s3, s0, s2
	s_mul_hi_u32 s4, s2, 3
	s_mul_i32 s2, s2, 3
	s_addc_u32 s5, s1, 0
	s_add_u32 s2, s3, s2
	s_addc_u32 s3, s5, s4
	s_load_dword s14, s[2:3], 0x6e0
	s_mov_b32 s23, 0
	s_mov_b32 s25, s23
	s_waitcnt lgkmcnt(0)
	s_ashr_i32 s15, s14, 31
	s_waitcnt vmcnt(0)
	v_readfirstlane_b32 s2, v1
	s_lshl_b32 s8, s2, 3
	s_load_dwordx2 s[26:27], s[0:1], s8 offset:0x480
	s_load_dwordx2 s[2:3], s[0:1], s8 offset:0x0
	;; [unrolled: 1-line block ×5, first 2 shown]
	s_lshl_b64 s[8:9], s[14:15], 19
	s_waitcnt lgkmcnt(0)
	s_add_u32 s10, s2, s8
	s_addc_u32 s11, s3, s9
	s_add_u32 s12, s18, s8
	s_addc_u32 s13, s19, s9
	s_and_b32 s22, s12, 31
	s_add_u32 s16, s4, s8
	s_addc_u32 s17, s5, s9
	s_add_u32 s20, s6, s8
	s_addc_u32 s21, s7, s9
	s_or_b32 s24, s20, s16
	s_and_b32 s24, s24, 31
	s_cmp_lg_u32 s24, 0
	s_cselect_b64 s[28:29], -1, 0
	s_lshl_b64 s[14:15], s[14:15], 16
	s_and_b32 s24, s10, 31
	s_cmp_lg_u64 s[22:23], 0
	s_cselect_b64 s[30:31], -1, 0
	s_or_b64 s[28:29], s[28:29], s[30:31]
	s_sub_u32 s14, s26, s14
	s_subb_u32 s15, s27, s15
	s_and_b32 s22, s26, 3
	s_or_b64 s[22:23], s[24:25], s[22:23]
	s_cmp_lg_u64 s[22:23], 0
	s_cselect_b64 s[22:23], -1, 0
	s_or_b64 s[22:23], s[28:29], s[22:23]
	s_andn2_b64 vcc, exec, s[22:23]
	s_mov_b64 s[22:23], -1
	s_cbranch_vccz .LBB3_21
; %bb.1:
	v_mov_b64_e32 v[2:3], 0x10000
	v_cmp_lt_i64_e32 vcc, s[14:15], v[2:3]
	s_and_b64 s[22:23], vcc, exec
	v_mov_b32_e32 v31, 0
	s_cselect_b32 s23, s15, 0
	s_cselect_b32 s22, s14, 0x10000
	v_lshlrev_b32_e32 v30, 2, v0
	v_cmp_gt_i64_e32 vcc, s[22:23], v[30:31]
	s_and_saveexec_b64 s[24:25], vcc
	s_cbranch_execz .LBB3_20
; %bb.2:
	s_load_dword s26, s[0:1], 0xbfc
	v_mov_b32_e32 v1, v31
	s_mov_b32 s27, 0
	v_lshlrev_b32_e32 v30, 5, v0
	s_mov_b64 s[28:29], 0
	s_waitcnt lgkmcnt(0)
	s_and_b32 s26, s26, 0xffff
	s_lshl_b32 s33, s26, 5
	s_mov_b32 s34, 0x3e800000
	v_mov_b64_e32 v[32:33], v[0:1]
	s_branch .LBB3_4
.LBB3_3:                                ;   in Loop: Header=BB3_4 Depth=1
	s_or_b64 exec, exec, s[30:31]
	v_lshl_add_u64 v[2:3], s[20:21], 0, v[30:31]
	s_add_u32 s20, s20, s33
	s_addc_u32 s21, s21, 0
	s_add_u32 s10, s10, s33
	s_addc_u32 s11, s11, 0
	s_add_u32 s16, s16, s33
	v_lshl_add_u64 v[32:33], v[32:33], 0, s[26:27]
	s_addc_u32 s17, s17, 0
	v_lshlrev_b64 v[4:5], 2, v[32:33]
	s_add_u32 s12, s12, s33
	s_addc_u32 s13, s13, 0
	v_cmp_le_i64_e32 vcc, s[22:23], v[4:5]
	s_or_b64 s[28:29], vcc, s[28:29]
	global_store_dwordx4 v[2:3], v[10:13], off
	global_store_dwordx4 v[2:3], v[18:21], off offset:16
	s_andn2_b64 exec, exec, s[28:29]
	s_cbranch_execz .LBB3_20
.LBB3_4:                                ; =>This Inner Loop Header: Depth=1
	v_lshl_add_u64 v[34:35], s[16:17], 0, v[30:31]
	v_lshl_add_u64 v[10:11], s[10:11], 0, v[30:31]
	;; [unrolled: 1-line block ×3, first 2 shown]
	global_load_dwordx4 v[2:5], v[34:35], off offset:16
	global_load_dwordx4 v[18:21], v[34:35], off
	global_load_dwordx4 v[6:9], v[10:11], off offset:16
	global_load_dwordx4 v[22:25], v[10:11], off
	global_load_dwordx4 v[26:29], v[12:13], off
	global_load_dwordx4 v[14:17], v[12:13], off offset:16
	s_waitcnt vmcnt(4)
	v_pk_mul_f32 v[10:11], v[18:19], v[18:19]
	s_nop 0
	v_add_f32_e32 v1, v10, v11
	v_cmp_ngt_f32_e32 vcc, s34, v1
	s_waitcnt vmcnt(1)
	v_pk_add_f32 v[12:13], v[26:27], v[22:23] neg_lo:[0,1] neg_hi:[0,1]
                                        ; implicit-def: $vgpr10_vgpr11
	s_and_saveexec_b64 s[30:31], vcc
	s_xor_b64 s[30:31], exec, s[30:31]
; %bb.5:                                ;   in Loop: Header=BB3_4 Depth=1
	v_sub_f32_e32 v34, 0, v19
	v_sub_f32_e32 v10, 1.0, v18
	v_pk_mul_f32 v[34:35], v[12:13], v[34:35] op_sel:[1,0] op_sel_hi:[0,0]
	v_pk_fma_f32 v[36:37], v[12:13], v[10:11], v[34:35] neg_lo:[0,0,1] neg_hi:[0,0,1]
	v_pk_fma_f32 v[10:11], v[12:13], v[10:11], v[34:35] op_sel_hi:[1,0,1]
                                        ; implicit-def: $vgpr12_vgpr13
	s_nop 0
	v_mov_b32_e32 v37, v11
	v_pk_add_f32 v[10:11], v[26:27], v[36:37] neg_lo:[0,1] neg_hi:[0,1]
; %bb.6:                                ;   in Loop: Header=BB3_4 Depth=1
	s_andn2_saveexec_b64 s[30:31], s[30:31]
; %bb.7:                                ;   in Loop: Header=BB3_4 Depth=1
	v_pk_mul_f32 v[10:11], v[12:13], v[18:19] op_sel:[1,1] op_sel_hi:[1,0]
	s_nop 0
	v_pk_fma_f32 v[26:27], v[12:13], v[18:19], v[10:11] neg_lo:[0,0,1] neg_hi:[0,0,1]
	v_pk_fma_f32 v[10:11], v[12:13], v[18:19], v[10:11] op_sel_hi:[0,1,1]
	v_mov_b32_e32 v27, v11
	v_pk_add_f32 v[10:11], v[22:23], v[26:27]
; %bb.8:                                ;   in Loop: Header=BB3_4 Depth=1
	s_or_b64 exec, exec, s[30:31]
	v_pk_mul_f32 v[12:13], v[20:21], v[20:21]
	v_pk_add_f32 v[18:19], v[28:29], v[24:25] neg_lo:[0,1] neg_hi:[0,1]
	v_add_f32_e32 v1, v12, v13
	v_cmp_ngt_f32_e32 vcc, s34, v1
	s_and_saveexec_b64 s[30:31], vcc
	s_xor_b64 s[30:31], exec, s[30:31]
; %bb.9:                                ;   in Loop: Header=BB3_4 Depth=1
	v_sub_f32_e32 v12, 1.0, v20
	v_sub_f32_e32 v20, 0, v21
	v_pk_mul_f32 v[20:21], v[18:19], v[20:21] op_sel:[1,0] op_sel_hi:[0,0]
	v_pk_fma_f32 v[22:23], v[18:19], v[12:13], v[20:21] neg_lo:[0,0,1] neg_hi:[0,0,1]
	v_pk_fma_f32 v[12:13], v[18:19], v[12:13], v[20:21] op_sel_hi:[1,0,1]
                                        ; implicit-def: $vgpr18_vgpr19
                                        ; implicit-def: $vgpr20_vgpr21
                                        ; implicit-def: $vgpr24_vgpr25
	s_nop 0
	v_mov_b32_e32 v23, v13
	v_pk_add_f32 v[12:13], v[28:29], v[22:23] neg_lo:[0,1] neg_hi:[0,1]
; %bb.10:                               ;   in Loop: Header=BB3_4 Depth=1
	s_andn2_saveexec_b64 s[30:31], s[30:31]
; %bb.11:                               ;   in Loop: Header=BB3_4 Depth=1
	v_pk_mul_f32 v[12:13], v[18:19], v[20:21] op_sel:[1,1] op_sel_hi:[1,0]
	s_nop 0
	v_pk_fma_f32 v[22:23], v[18:19], v[20:21], v[12:13] neg_lo:[0,0,1] neg_hi:[0,0,1]
	v_pk_fma_f32 v[12:13], v[18:19], v[20:21], v[12:13] op_sel_hi:[0,1,1]
	v_mov_b32_e32 v23, v13
	v_pk_add_f32 v[12:13], v[24:25], v[22:23]
; %bb.12:                               ;   in Loop: Header=BB3_4 Depth=1
	s_or_b64 exec, exec, s[30:31]
	v_pk_mul_f32 v[18:19], v[2:3], v[2:3]
	s_waitcnt vmcnt(0)
	v_pk_add_f32 v[20:21], v[14:15], v[6:7] neg_lo:[0,1] neg_hi:[0,1]
	v_add_f32_e32 v1, v18, v19
	v_cmp_ngt_f32_e32 vcc, s34, v1
                                        ; implicit-def: $vgpr18_vgpr19
	s_and_saveexec_b64 s[30:31], vcc
	s_xor_b64 s[30:31], exec, s[30:31]
; %bb.13:                               ;   in Loop: Header=BB3_4 Depth=1
	v_sub_f32_e32 v22, 0, v3
	v_sub_f32_e32 v18, 1.0, v2
	v_pk_mul_f32 v[22:23], v[20:21], v[22:23] op_sel:[1,0] op_sel_hi:[0,0]
	v_pk_fma_f32 v[24:25], v[20:21], v[18:19], v[22:23] neg_lo:[0,0,1] neg_hi:[0,0,1]
	v_pk_fma_f32 v[18:19], v[20:21], v[18:19], v[22:23] op_sel_hi:[1,0,1]
                                        ; implicit-def: $vgpr20_vgpr21
	s_nop 0
	v_mov_b32_e32 v25, v19
	v_pk_add_f32 v[18:19], v[14:15], v[24:25] neg_lo:[0,1] neg_hi:[0,1]
; %bb.14:                               ;   in Loop: Header=BB3_4 Depth=1
	s_andn2_saveexec_b64 s[30:31], s[30:31]
; %bb.15:                               ;   in Loop: Header=BB3_4 Depth=1
	v_pk_mul_f32 v[14:15], v[20:21], v[2:3] op_sel:[1,1] op_sel_hi:[1,0]
	s_nop 0
	v_pk_fma_f32 v[18:19], v[20:21], v[2:3], v[14:15] neg_lo:[0,0,1] neg_hi:[0,0,1]
	v_pk_fma_f32 v[2:3], v[20:21], v[2:3], v[14:15] op_sel_hi:[0,1,1]
	v_mov_b32_e32 v19, v3
	v_pk_add_f32 v[18:19], v[6:7], v[18:19]
; %bb.16:                               ;   in Loop: Header=BB3_4 Depth=1
	s_or_b64 exec, exec, s[30:31]
	v_pk_mul_f32 v[2:3], v[4:5], v[4:5]
	s_nop 0
	v_add_f32_e32 v1, v2, v3
	v_cmp_ngt_f32_e32 vcc, s34, v1
	v_pk_add_f32 v[2:3], v[16:17], v[8:9] neg_lo:[0,1] neg_hi:[0,1]
	s_and_saveexec_b64 s[30:31], vcc
	s_xor_b64 s[30:31], exec, s[30:31]
; %bb.17:                               ;   in Loop: Header=BB3_4 Depth=1
	v_sub_f32_e32 v6, 0, v5
	v_sub_f32_e32 v4, 1.0, v4
	v_pk_mul_f32 v[6:7], v[2:3], v[6:7] op_sel:[1,0] op_sel_hi:[0,0]
	v_pk_fma_f32 v[8:9], v[2:3], v[4:5], v[6:7] neg_lo:[0,0,1] neg_hi:[0,0,1]
	v_pk_fma_f32 v[2:3], v[2:3], v[4:5], v[6:7] op_sel_hi:[1,0,1]
                                        ; implicit-def: $vgpr4_vgpr5
	s_nop 0
	v_mov_b32_e32 v9, v3
	v_pk_add_f32 v[20:21], v[16:17], v[8:9] neg_lo:[0,1] neg_hi:[0,1]
                                        ; implicit-def: $vgpr2_vgpr3
                                        ; implicit-def: $vgpr8_vgpr9
; %bb.18:                               ;   in Loop: Header=BB3_4 Depth=1
	s_andn2_saveexec_b64 s[30:31], s[30:31]
	s_cbranch_execz .LBB3_3
; %bb.19:                               ;   in Loop: Header=BB3_4 Depth=1
	v_pk_mul_f32 v[6:7], v[2:3], v[4:5] op_sel:[1,1] op_sel_hi:[1,0]
	s_nop 0
	v_pk_fma_f32 v[14:15], v[2:3], v[4:5], v[6:7] neg_lo:[0,0,1] neg_hi:[0,0,1]
	v_pk_fma_f32 v[2:3], v[2:3], v[4:5], v[6:7] op_sel_hi:[0,1,1]
	v_mov_b32_e32 v15, v3
	v_pk_add_f32 v[20:21], v[8:9], v[14:15]
	s_branch .LBB3_3
.LBB3_20:
	s_or_b64 exec, exec, s[24:25]
	s_mov_b64 s[22:23], 0
.LBB3_21:
	s_andn2_b64 vcc, exec, s[22:23]
	s_cbranch_vccnz .LBB3_65
; %bb.22:
	v_cmp_lt_i64_e64 s[10:11], s[14:15], 1
	s_and_b64 vcc, exec, s[10:11]
	s_cbranch_vccnz .LBB3_65
; %bb.23:
	s_load_dword s10, s[0:1], 0xbfc
	v_mov_b64_e32 v[2:3], 0x10000
	v_cmp_lt_i64_e32 vcc, s[14:15], v[2:3]
	s_and_b64 s[0:1], vcc, exec
	s_mov_b32 s11, 0
	s_cselect_b32 s13, s15, 0
	s_cselect_b32 s12, s14, 0x10000
	s_waitcnt lgkmcnt(0)
	s_and_b32 s10, s10, 0xffff
	v_cmp_lt_u64_e32 vcc, s[14:15], v[2:3]
	v_mov_b32_e32 v1, 0
	s_and_b64 s[0:1], vcc, exec
	s_mul_i32 s22, s10, 3
	s_mov_b32 s23, s11
	s_cselect_b32 s15, s15, 0
	s_cselect_b32 s14, s14, 0x10000
	v_lshlrev_b32_e32 v20, 3, v0
	v_mov_b32_e32 v21, v1
	v_lshl_add_u64 v[18:19], s[22:23], 0, v[0:1]
	s_lshl_b32 s22, s10, 4
	v_lshl_add_u64 v[30:31], v[0:1], 0, s[10:11]
	s_lshl_b32 s0, s10, 1
	s_mov_b32 s1, s11
	v_mad_u64_u32 v[16:17], s[24:25], s10, 24, v[20:21]
	v_lshl_add_u64 v[26:27], s[22:23], 0, v[20:21]
	v_lshlrev_b32_e32 v38, 3, v30
	v_mov_b32_e32 v39, v1
	s_lshl_b32 s20, s10, 2
	v_lshl_add_u64 v[2:3], s[18:19], 0, v[20:21]
	s_lshl_b32 s16, s10, 5
	s_mov_b32 s17, s11
	v_lshl_add_u64 v[4:5], s[2:3], 0, v[20:21]
	v_lshl_add_u64 v[6:7], s[4:5], 0, v[20:21]
	v_lshl_add_u64 v[8:9], s[6:7], 0, v[20:21]
	v_lshl_add_u64 v[10:11], s[18:19], 0, v[16:17]
	v_lshl_add_u64 v[12:13], s[2:3], 0, v[16:17]
	v_lshl_add_u64 v[14:15], s[4:5], 0, v[16:17]
	v_lshl_add_u64 v[16:17], s[6:7], 0, v[16:17]
	v_lshl_add_u64 v[20:21], s[18:19], 0, v[26:27]
	v_lshl_add_u64 v[22:23], s[2:3], 0, v[26:27]
	v_lshl_add_u64 v[24:25], s[4:5], 0, v[26:27]
	v_lshl_add_u64 v[26:27], s[6:7], 0, v[26:27]
	v_lshl_add_u64 v[28:29], s[0:1], 0, v[0:1]
	v_lshl_add_u64 v[32:33], s[18:19], 0, v[38:39]
	v_lshl_add_u64 v[34:35], s[2:3], 0, v[38:39]
	v_lshl_add_u64 v[36:37], s[4:5], 0, v[38:39]
	v_lshl_add_u64 v[38:39], s[6:7], 0, v[38:39]
	s_mov_b64 s[18:19], 0
	s_mov_b32 s21, 0x3e800000
	s_mov_b32 s10, 1.0
	s_branch .LBB3_25
.LBB3_24:                               ;   in Loop: Header=BB3_25 Depth=1
	s_or_b64 exec, exec, s[0:1]
	s_add_u32 s18, s18, s20
	s_addc_u32 s19, s19, 0
	v_mov_b64_e32 v[40:41], s[12:13]
	v_cmp_ge_i64_e32 vcc, s[18:19], v[40:41]
	v_lshl_add_u64 v[2:3], v[2:3], 0, s[16:17]
	v_lshl_add_u64 v[4:5], v[4:5], 0, s[16:17]
	;; [unrolled: 1-line block ×16, first 2 shown]
	s_cbranch_vccnz .LBB3_65
.LBB3_25:                               ; =>This Inner Loop Header: Depth=1
	v_lshl_add_u64 v[40:41], v[0:1], 0, s[18:19]
	v_cmp_gt_u64_e32 vcc, s[14:15], v[40:41]
	v_mov_b32_e32 v48, 0
	v_mov_b32_e32 v49, 0
	;; [unrolled: 1-line block ×4, first 2 shown]
	s_and_saveexec_b64 s[0:1], vcc
	s_cbranch_execz .LBB3_27
; %bb.26:                               ;   in Loop: Header=BB3_25 Depth=1
	v_lshl_add_u64 v[42:43], v[4:5], 0, s[8:9]
	v_lshl_add_u64 v[40:41], v[2:3], 0, s[8:9]
	global_load_dwordx2 v[48:49], v[42:43], off
	global_load_dwordx2 v[56:57], v[40:41], off
.LBB3_27:                               ;   in Loop: Header=BB3_25 Depth=1
	s_or_b64 exec, exec, s[0:1]
	v_mov_b32_e32 v44, 0
	v_mov_b32_e32 v62, 0
	;; [unrolled: 1-line block ×3, first 2 shown]
	s_and_saveexec_b64 s[0:1], vcc
	s_cbranch_execz .LBB3_29
; %bb.28:                               ;   in Loop: Header=BB3_25 Depth=1
	v_lshl_add_u64 v[40:41], v[6:7], 0, s[8:9]
	global_load_dwordx2 v[62:63], v[40:41], off
.LBB3_29:                               ;   in Loop: Header=BB3_25 Depth=1
	s_or_b64 exec, exec, s[0:1]
	v_lshl_add_u64 v[40:41], v[30:31], 0, s[18:19]
	v_cmp_gt_u64_e64 s[0:1], s[14:15], v[40:41]
	v_mov_b32_e32 v45, 0
	v_mov_b32_e32 v52, 0
	;; [unrolled: 1-line block ×3, first 2 shown]
	s_and_saveexec_b64 s[2:3], s[0:1]
	s_cbranch_execz .LBB3_31
; %bb.30:                               ;   in Loop: Header=BB3_25 Depth=1
	v_lshl_add_u64 v[42:43], v[34:35], 0, s[8:9]
	v_lshl_add_u64 v[40:41], v[32:33], 0, s[8:9]
	global_load_dwordx2 v[44:45], v[42:43], off
	global_load_dwordx2 v[52:53], v[40:41], off
.LBB3_31:                               ;   in Loop: Header=BB3_25 Depth=1
	s_or_b64 exec, exec, s[2:3]
	v_mov_b32_e32 v42, 0
	v_mov_b32_e32 v60, 0
	;; [unrolled: 1-line block ×3, first 2 shown]
	s_and_saveexec_b64 s[2:3], s[0:1]
	s_cbranch_execz .LBB3_33
; %bb.32:                               ;   in Loop: Header=BB3_25 Depth=1
	v_lshl_add_u64 v[40:41], v[36:37], 0, s[8:9]
	global_load_dwordx2 v[60:61], v[40:41], off
.LBB3_33:                               ;   in Loop: Header=BB3_25 Depth=1
	s_or_b64 exec, exec, s[2:3]
	v_lshl_add_u64 v[40:41], v[28:29], 0, s[18:19]
	v_cmp_gt_u64_e64 s[2:3], s[14:15], v[40:41]
	v_mov_b32_e32 v43, 0
	v_mov_b32_e32 v50, 0
	;; [unrolled: 1-line block ×3, first 2 shown]
	s_and_saveexec_b64 s[4:5], s[2:3]
	s_cbranch_execz .LBB3_35
; %bb.34:                               ;   in Loop: Header=BB3_25 Depth=1
	v_lshl_add_u64 v[46:47], v[22:23], 0, s[8:9]
	v_lshl_add_u64 v[40:41], v[20:21], 0, s[8:9]
	global_load_dwordx2 v[42:43], v[46:47], off
	global_load_dwordx2 v[50:51], v[40:41], off
.LBB3_35:                               ;   in Loop: Header=BB3_25 Depth=1
	s_or_b64 exec, exec, s[4:5]
	v_mov_b32_e32 v40, 0
	v_mov_b32_e32 v58, 0
	v_mov_b32_e32 v59, 0
	s_and_saveexec_b64 s[4:5], s[2:3]
	s_cbranch_execz .LBB3_37
; %bb.36:                               ;   in Loop: Header=BB3_25 Depth=1
	v_lshl_add_u64 v[46:47], v[24:25], 0, s[8:9]
	global_load_dwordx2 v[58:59], v[46:47], off
.LBB3_37:                               ;   in Loop: Header=BB3_25 Depth=1
	s_or_b64 exec, exec, s[4:5]
	v_lshl_add_u64 v[46:47], v[18:19], 0, s[18:19]
	v_cmp_gt_u64_e64 s[4:5], s[14:15], v[46:47]
	v_mov_b32_e32 v41, 0
	v_mov_b32_e32 v46, 0
	;; [unrolled: 1-line block ×3, first 2 shown]
	s_and_saveexec_b64 s[6:7], s[4:5]
	s_cbranch_execz .LBB3_39
; %bb.38:                               ;   in Loop: Header=BB3_25 Depth=1
	v_lshl_add_u64 v[64:65], v[12:13], 0, s[8:9]
	v_lshl_add_u64 v[54:55], v[10:11], 0, s[8:9]
	global_load_dwordx2 v[40:41], v[64:65], off
	global_load_dwordx2 v[46:47], v[54:55], off
.LBB3_39:                               ;   in Loop: Header=BB3_25 Depth=1
	s_or_b64 exec, exec, s[6:7]
	v_mov_b32_e32 v54, 0
	v_mov_b32_e32 v55, v54
	s_and_saveexec_b64 s[6:7], s[4:5]
	s_cbranch_execz .LBB3_41
; %bb.40:                               ;   in Loop: Header=BB3_25 Depth=1
	v_lshl_add_u64 v[54:55], v[14:15], 0, s[8:9]
	global_load_dwordx2 v[54:55], v[54:55], off
.LBB3_41:                               ;   in Loop: Header=BB3_25 Depth=1
	s_or_b64 exec, exec, s[6:7]
	s_waitcnt vmcnt(0)
	v_pk_mul_f32 v[64:65], v[62:63], v[62:63]
	v_pk_add_f32 v[66:67], v[56:57], v[48:49] neg_lo:[0,1] neg_hi:[0,1]
	v_add_f32_e32 v64, v65, v64
	v_cmp_ngt_f32_e64 s[6:7], s21, v64
                                        ; implicit-def: $vgpr64_vgpr65
	s_and_saveexec_b64 s[22:23], s[6:7]
	s_xor_b64 s[6:7], exec, s[22:23]
; %bb.42:                               ;   in Loop: Header=BB3_25 Depth=1
	v_pk_add_f32 v[48:49], v[62:63], s[10:11] neg_lo:[1,0] neg_hi:[1,0]
	s_nop 0
	v_pk_mul_f32 v[62:63], v[66:67], v[48:49] op_sel:[1,1] op_sel_hi:[1,0]
	s_nop 0
	v_pk_fma_f32 v[64:65], v[66:67], v[48:49], v[62:63] neg_lo:[0,0,1] neg_hi:[0,0,1]
	v_pk_fma_f32 v[48:49], v[66:67], v[48:49], v[62:63] op_sel_hi:[0,1,1]
	v_mov_b32_e32 v65, v49
	v_pk_add_f32 v[64:65], v[56:57], v[64:65] neg_lo:[0,1] neg_hi:[0,1]
                                        ; implicit-def: $vgpr66_vgpr67
                                        ; implicit-def: $vgpr62_vgpr63
                                        ; implicit-def: $vgpr48_vgpr49
; %bb.43:                               ;   in Loop: Header=BB3_25 Depth=1
	s_andn2_saveexec_b64 s[6:7], s[6:7]
; %bb.44:                               ;   in Loop: Header=BB3_25 Depth=1
	v_pk_mul_f32 v[56:57], v[66:67], v[62:63] op_sel:[1,1] op_sel_hi:[1,0]
	s_nop 0
	v_pk_fma_f32 v[64:65], v[66:67], v[62:63], v[56:57] neg_lo:[0,0,1] neg_hi:[0,0,1]
	v_pk_fma_f32 v[56:57], v[66:67], v[62:63], v[56:57] op_sel_hi:[0,1,1]
	v_mov_b32_e32 v65, v57
	v_pk_add_f32 v[64:65], v[48:49], v[64:65]
; %bb.45:                               ;   in Loop: Header=BB3_25 Depth=1
	s_or_b64 exec, exec, s[6:7]
	v_pk_mul_f32 v[48:49], v[60:61], v[60:61]
	v_pk_add_f32 v[56:57], v[52:53], v[44:45] neg_lo:[0,1] neg_hi:[0,1]
	v_add_f32_e32 v48, v49, v48
	v_cmp_ngt_f32_e64 s[6:7], s21, v48
                                        ; implicit-def: $vgpr48_vgpr49
	s_and_saveexec_b64 s[22:23], s[6:7]
	s_xor_b64 s[6:7], exec, s[22:23]
; %bb.46:                               ;   in Loop: Header=BB3_25 Depth=1
	v_pk_add_f32 v[44:45], v[60:61], s[10:11] neg_lo:[1,0] neg_hi:[1,0]
	s_nop 0
	v_pk_mul_f32 v[48:49], v[56:57], v[44:45] op_sel:[1,1] op_sel_hi:[1,0]
	s_nop 0
	v_pk_fma_f32 v[60:61], v[56:57], v[44:45], v[48:49] neg_lo:[0,0,1] neg_hi:[0,0,1]
	v_pk_fma_f32 v[44:45], v[56:57], v[44:45], v[48:49] op_sel_hi:[0,1,1]
	v_mov_b32_e32 v61, v45
	v_pk_add_f32 v[48:49], v[52:53], v[60:61] neg_lo:[0,1] neg_hi:[0,1]
                                        ; implicit-def: $vgpr56_vgpr57
                                        ; implicit-def: $vgpr60_vgpr61
                                        ; implicit-def: $vgpr44_vgpr45
; %bb.47:                               ;   in Loop: Header=BB3_25 Depth=1
	s_andn2_saveexec_b64 s[6:7], s[6:7]
; %bb.48:                               ;   in Loop: Header=BB3_25 Depth=1
	v_pk_mul_f32 v[48:49], v[56:57], v[60:61] op_sel:[1,1] op_sel_hi:[1,0]
	s_nop 0
	v_pk_fma_f32 v[52:53], v[56:57], v[60:61], v[48:49] neg_lo:[0,0,1] neg_hi:[0,0,1]
	v_pk_fma_f32 v[48:49], v[56:57], v[60:61], v[48:49] op_sel_hi:[0,1,1]
	v_mov_b32_e32 v53, v49
	v_pk_add_f32 v[48:49], v[44:45], v[52:53]
; %bb.49:                               ;   in Loop: Header=BB3_25 Depth=1
	s_or_b64 exec, exec, s[6:7]
	v_pk_mul_f32 v[44:45], v[58:59], v[58:59]
	v_pk_add_f32 v[52:53], v[50:51], v[42:43] neg_lo:[0,1] neg_hi:[0,1]
	v_add_f32_e32 v44, v45, v44
	v_cmp_ngt_f32_e64 s[6:7], s21, v44
                                        ; implicit-def: $vgpr44_vgpr45
	s_and_saveexec_b64 s[22:23], s[6:7]
	s_xor_b64 s[6:7], exec, s[22:23]
; %bb.50:                               ;   in Loop: Header=BB3_25 Depth=1
	v_pk_add_f32 v[42:43], v[58:59], s[10:11] neg_lo:[1,0] neg_hi:[1,0]
                                        ; implicit-def: $vgpr58_vgpr59
	s_nop 0
	v_pk_mul_f32 v[44:45], v[52:53], v[42:43] op_sel:[1,1] op_sel_hi:[1,0]
	s_nop 0
	v_pk_fma_f32 v[56:57], v[52:53], v[42:43], v[44:45] neg_lo:[0,0,1] neg_hi:[0,0,1]
	v_pk_fma_f32 v[42:43], v[52:53], v[42:43], v[44:45] op_sel_hi:[0,1,1]
	v_mov_b32_e32 v57, v43
	v_pk_add_f32 v[44:45], v[50:51], v[56:57] neg_lo:[0,1] neg_hi:[0,1]
                                        ; implicit-def: $vgpr52_vgpr53
                                        ; implicit-def: $vgpr42_vgpr43
; %bb.51:                               ;   in Loop: Header=BB3_25 Depth=1
	s_andn2_saveexec_b64 s[6:7], s[6:7]
; %bb.52:                               ;   in Loop: Header=BB3_25 Depth=1
	v_pk_mul_f32 v[44:45], v[52:53], v[58:59] op_sel:[1,1] op_sel_hi:[1,0]
	s_nop 0
	v_pk_fma_f32 v[50:51], v[52:53], v[58:59], v[44:45] neg_lo:[0,0,1] neg_hi:[0,0,1]
	v_pk_fma_f32 v[44:45], v[52:53], v[58:59], v[44:45] op_sel_hi:[0,1,1]
	v_mov_b32_e32 v51, v45
	v_pk_add_f32 v[44:45], v[42:43], v[50:51]
; %bb.53:                               ;   in Loop: Header=BB3_25 Depth=1
	s_or_b64 exec, exec, s[6:7]
	v_pk_mul_f32 v[42:43], v[54:55], v[54:55]
	v_pk_add_f32 v[50:51], v[46:47], v[40:41] neg_lo:[0,1] neg_hi:[0,1]
	v_add_f32_e32 v42, v43, v42
	v_cmp_ngt_f32_e64 s[6:7], s21, v42
                                        ; implicit-def: $vgpr42_vgpr43
	s_and_saveexec_b64 s[22:23], s[6:7]
	s_xor_b64 s[6:7], exec, s[22:23]
	s_cbranch_execnz .LBB3_59
; %bb.54:                               ;   in Loop: Header=BB3_25 Depth=1
	s_andn2_saveexec_b64 s[6:7], s[6:7]
	s_cbranch_execnz .LBB3_60
.LBB3_55:                               ;   in Loop: Header=BB3_25 Depth=1
	s_or_b64 exec, exec, s[6:7]
	s_and_saveexec_b64 s[6:7], vcc
	s_xor_b64 s[6:7], exec, s[6:7]
	s_cbranch_execnz .LBB3_61
.LBB3_56:                               ;   in Loop: Header=BB3_25 Depth=1
	s_or_b64 exec, exec, s[6:7]
	s_and_saveexec_b64 s[6:7], s[0:1]
	s_cbranch_execnz .LBB3_62
.LBB3_57:                               ;   in Loop: Header=BB3_25 Depth=1
	s_or_b64 exec, exec, s[6:7]
	s_and_saveexec_b64 s[0:1], s[2:3]
	s_cbranch_execnz .LBB3_63
.LBB3_58:                               ;   in Loop: Header=BB3_25 Depth=1
	s_or_b64 exec, exec, s[0:1]
	s_and_saveexec_b64 s[0:1], s[4:5]
	s_cbranch_execz .LBB3_24
	s_branch .LBB3_64
.LBB3_59:                               ;   in Loop: Header=BB3_25 Depth=1
	v_pk_add_f32 v[40:41], v[54:55], s[10:11] neg_lo:[1,0] neg_hi:[1,0]
                                        ; implicit-def: $vgpr54_vgpr55
	s_nop 0
	v_pk_mul_f32 v[42:43], v[50:51], v[40:41] op_sel:[1,1] op_sel_hi:[1,0]
	s_nop 0
	v_pk_fma_f32 v[52:53], v[50:51], v[40:41], v[42:43] neg_lo:[0,0,1] neg_hi:[0,0,1]
	v_pk_fma_f32 v[40:41], v[50:51], v[40:41], v[42:43] op_sel_hi:[0,1,1]
	v_mov_b32_e32 v53, v41
	v_pk_add_f32 v[42:43], v[46:47], v[52:53] neg_lo:[0,1] neg_hi:[0,1]
                                        ; implicit-def: $vgpr50_vgpr51
                                        ; implicit-def: $vgpr40_vgpr41
	s_andn2_saveexec_b64 s[6:7], s[6:7]
	s_cbranch_execz .LBB3_55
.LBB3_60:                               ;   in Loop: Header=BB3_25 Depth=1
	v_pk_mul_f32 v[42:43], v[50:51], v[54:55] op_sel:[1,1] op_sel_hi:[1,0]
	s_nop 0
	v_pk_fma_f32 v[46:47], v[50:51], v[54:55], v[42:43] neg_lo:[0,0,1] neg_hi:[0,0,1]
	v_pk_fma_f32 v[42:43], v[50:51], v[54:55], v[42:43] op_sel_hi:[0,1,1]
	v_mov_b32_e32 v47, v43
	v_pk_add_f32 v[42:43], v[40:41], v[46:47]
	s_or_b64 exec, exec, s[6:7]
	s_and_saveexec_b64 s[6:7], vcc
	s_xor_b64 s[6:7], exec, s[6:7]
	s_cbranch_execz .LBB3_56
.LBB3_61:                               ;   in Loop: Header=BB3_25 Depth=1
	v_lshl_add_u64 v[40:41], v[8:9], 0, s[8:9]
	global_store_dwordx2 v[40:41], v[64:65], off
	s_or_b64 exec, exec, s[6:7]
	s_and_saveexec_b64 s[6:7], s[0:1]
	s_cbranch_execz .LBB3_57
.LBB3_62:                               ;   in Loop: Header=BB3_25 Depth=1
	v_lshl_add_u64 v[40:41], v[38:39], 0, s[8:9]
	global_store_dwordx2 v[40:41], v[48:49], off
	s_or_b64 exec, exec, s[6:7]
	s_and_saveexec_b64 s[0:1], s[2:3]
	s_cbranch_execz .LBB3_58
.LBB3_63:                               ;   in Loop: Header=BB3_25 Depth=1
	v_lshl_add_u64 v[40:41], v[26:27], 0, s[8:9]
	global_store_dwordx2 v[40:41], v[44:45], off
	s_or_b64 exec, exec, s[0:1]
	s_and_saveexec_b64 s[0:1], s[4:5]
	s_cbranch_execz .LBB3_24
.LBB3_64:                               ;   in Loop: Header=BB3_25 Depth=1
	v_lshl_add_u64 v[40:41], v[16:17], 0, s[8:9]
	global_store_dwordx2 v[40:41], v[42:43], off
	s_branch .LBB3_24
.LBB3_65:
	s_endpgm
	.section	.rodata,"a",@progbits
	.p2align	6, 0x0
	.amdhsa_kernel _ZN2at6native12_GLOBAL__N_125multi_tensor_apply_kernelINS1_18TensorListMetadataILi4EEENS1_20TernaryOpListFunctorIN3c107complexIfEELi4ELi3ELi3EEEJNS0_11LerpFunctorIS8_EEEEEvT_T0_DpT1_
		.amdhsa_group_segment_fixed_size 0
		.amdhsa_private_segment_fixed_size 0
		.amdhsa_kernarg_size 3312
		.amdhsa_user_sgpr_count 2
		.amdhsa_user_sgpr_dispatch_ptr 0
		.amdhsa_user_sgpr_queue_ptr 0
		.amdhsa_user_sgpr_kernarg_segment_ptr 1
		.amdhsa_user_sgpr_dispatch_id 0
		.amdhsa_user_sgpr_kernarg_preload_length 0
		.amdhsa_user_sgpr_kernarg_preload_offset 0
		.amdhsa_user_sgpr_private_segment_size 0
		.amdhsa_uses_dynamic_stack 0
		.amdhsa_enable_private_segment 0
		.amdhsa_system_sgpr_workgroup_id_x 1
		.amdhsa_system_sgpr_workgroup_id_y 0
		.amdhsa_system_sgpr_workgroup_id_z 0
		.amdhsa_system_sgpr_workgroup_info 0
		.amdhsa_system_vgpr_workitem_id 0
		.amdhsa_next_free_vgpr 68
		.amdhsa_next_free_sgpr 35
		.amdhsa_accum_offset 68
		.amdhsa_reserve_vcc 1
		.amdhsa_float_round_mode_32 0
		.amdhsa_float_round_mode_16_64 0
		.amdhsa_float_denorm_mode_32 3
		.amdhsa_float_denorm_mode_16_64 3
		.amdhsa_dx10_clamp 1
		.amdhsa_ieee_mode 1
		.amdhsa_fp16_overflow 0
		.amdhsa_tg_split 0
		.amdhsa_exception_fp_ieee_invalid_op 0
		.amdhsa_exception_fp_denorm_src 0
		.amdhsa_exception_fp_ieee_div_zero 0
		.amdhsa_exception_fp_ieee_overflow 0
		.amdhsa_exception_fp_ieee_underflow 0
		.amdhsa_exception_fp_ieee_inexact 0
		.amdhsa_exception_int_div_zero 0
	.end_amdhsa_kernel
	.section	.text._ZN2at6native12_GLOBAL__N_125multi_tensor_apply_kernelINS1_18TensorListMetadataILi4EEENS1_20TernaryOpListFunctorIN3c107complexIfEELi4ELi3ELi3EEEJNS0_11LerpFunctorIS8_EEEEEvT_T0_DpT1_,"axG",@progbits,_ZN2at6native12_GLOBAL__N_125multi_tensor_apply_kernelINS1_18TensorListMetadataILi4EEENS1_20TernaryOpListFunctorIN3c107complexIfEELi4ELi3ELi3EEEJNS0_11LerpFunctorIS8_EEEEEvT_T0_DpT1_,comdat
.Lfunc_end3:
	.size	_ZN2at6native12_GLOBAL__N_125multi_tensor_apply_kernelINS1_18TensorListMetadataILi4EEENS1_20TernaryOpListFunctorIN3c107complexIfEELi4ELi3ELi3EEEJNS0_11LerpFunctorIS8_EEEEEvT_T0_DpT1_, .Lfunc_end3-_ZN2at6native12_GLOBAL__N_125multi_tensor_apply_kernelINS1_18TensorListMetadataILi4EEENS1_20TernaryOpListFunctorIN3c107complexIfEELi4ELi3ELi3EEEJNS0_11LerpFunctorIS8_EEEEEvT_T0_DpT1_
                                        ; -- End function
	.set _ZN2at6native12_GLOBAL__N_125multi_tensor_apply_kernelINS1_18TensorListMetadataILi4EEENS1_20TernaryOpListFunctorIN3c107complexIfEELi4ELi3ELi3EEEJNS0_11LerpFunctorIS8_EEEEEvT_T0_DpT1_.num_vgpr, 68
	.set _ZN2at6native12_GLOBAL__N_125multi_tensor_apply_kernelINS1_18TensorListMetadataILi4EEENS1_20TernaryOpListFunctorIN3c107complexIfEELi4ELi3ELi3EEEJNS0_11LerpFunctorIS8_EEEEEvT_T0_DpT1_.num_agpr, 0
	.set _ZN2at6native12_GLOBAL__N_125multi_tensor_apply_kernelINS1_18TensorListMetadataILi4EEENS1_20TernaryOpListFunctorIN3c107complexIfEELi4ELi3ELi3EEEJNS0_11LerpFunctorIS8_EEEEEvT_T0_DpT1_.numbered_sgpr, 35
	.set _ZN2at6native12_GLOBAL__N_125multi_tensor_apply_kernelINS1_18TensorListMetadataILi4EEENS1_20TernaryOpListFunctorIN3c107complexIfEELi4ELi3ELi3EEEJNS0_11LerpFunctorIS8_EEEEEvT_T0_DpT1_.num_named_barrier, 0
	.set _ZN2at6native12_GLOBAL__N_125multi_tensor_apply_kernelINS1_18TensorListMetadataILi4EEENS1_20TernaryOpListFunctorIN3c107complexIfEELi4ELi3ELi3EEEJNS0_11LerpFunctorIS8_EEEEEvT_T0_DpT1_.private_seg_size, 0
	.set _ZN2at6native12_GLOBAL__N_125multi_tensor_apply_kernelINS1_18TensorListMetadataILi4EEENS1_20TernaryOpListFunctorIN3c107complexIfEELi4ELi3ELi3EEEJNS0_11LerpFunctorIS8_EEEEEvT_T0_DpT1_.uses_vcc, 1
	.set _ZN2at6native12_GLOBAL__N_125multi_tensor_apply_kernelINS1_18TensorListMetadataILi4EEENS1_20TernaryOpListFunctorIN3c107complexIfEELi4ELi3ELi3EEEJNS0_11LerpFunctorIS8_EEEEEvT_T0_DpT1_.uses_flat_scratch, 0
	.set _ZN2at6native12_GLOBAL__N_125multi_tensor_apply_kernelINS1_18TensorListMetadataILi4EEENS1_20TernaryOpListFunctorIN3c107complexIfEELi4ELi3ELi3EEEJNS0_11LerpFunctorIS8_EEEEEvT_T0_DpT1_.has_dyn_sized_stack, 0
	.set _ZN2at6native12_GLOBAL__N_125multi_tensor_apply_kernelINS1_18TensorListMetadataILi4EEENS1_20TernaryOpListFunctorIN3c107complexIfEELi4ELi3ELi3EEEJNS0_11LerpFunctorIS8_EEEEEvT_T0_DpT1_.has_recursion, 0
	.set _ZN2at6native12_GLOBAL__N_125multi_tensor_apply_kernelINS1_18TensorListMetadataILi4EEENS1_20TernaryOpListFunctorIN3c107complexIfEELi4ELi3ELi3EEEJNS0_11LerpFunctorIS8_EEEEEvT_T0_DpT1_.has_indirect_call, 0
	.section	.AMDGPU.csdata,"",@progbits
; Kernel info:
; codeLenInByte = 2716
; TotalNumSgprs: 41
; NumVgprs: 68
; NumAgprs: 0
; TotalNumVgprs: 68
; ScratchSize: 0
; MemoryBound: 1
; FloatMode: 240
; IeeeMode: 1
; LDSByteSize: 0 bytes/workgroup (compile time only)
; SGPRBlocks: 5
; VGPRBlocks: 8
; NumSGPRsForWavesPerEU: 41
; NumVGPRsForWavesPerEU: 68
; AccumOffset: 68
; Occupancy: 7
; WaveLimiterHint : 0
; COMPUTE_PGM_RSRC2:SCRATCH_EN: 0
; COMPUTE_PGM_RSRC2:USER_SGPR: 2
; COMPUTE_PGM_RSRC2:TRAP_HANDLER: 0
; COMPUTE_PGM_RSRC2:TGID_X_EN: 1
; COMPUTE_PGM_RSRC2:TGID_Y_EN: 0
; COMPUTE_PGM_RSRC2:TGID_Z_EN: 0
; COMPUTE_PGM_RSRC2:TIDIG_COMP_CNT: 0
; COMPUTE_PGM_RSRC3_GFX90A:ACCUM_OFFSET: 16
; COMPUTE_PGM_RSRC3_GFX90A:TG_SPLIT: 0
	.section	.text._ZN2at6native12_GLOBAL__N_125multi_tensor_apply_kernelINS1_18TensorListMetadataILi4EEENS1_20TernaryOpListFunctorIN3c104HalfELi4ELi3ELi3EEEJNS0_11LerpFunctorIfEEEEEvT_T0_DpT1_,"axG",@progbits,_ZN2at6native12_GLOBAL__N_125multi_tensor_apply_kernelINS1_18TensorListMetadataILi4EEENS1_20TernaryOpListFunctorIN3c104HalfELi4ELi3ELi3EEEJNS0_11LerpFunctorIfEEEEEvT_T0_DpT1_,comdat
	.globl	_ZN2at6native12_GLOBAL__N_125multi_tensor_apply_kernelINS1_18TensorListMetadataILi4EEENS1_20TernaryOpListFunctorIN3c104HalfELi4ELi3ELi3EEEJNS0_11LerpFunctorIfEEEEEvT_T0_DpT1_ ; -- Begin function _ZN2at6native12_GLOBAL__N_125multi_tensor_apply_kernelINS1_18TensorListMetadataILi4EEENS1_20TernaryOpListFunctorIN3c104HalfELi4ELi3ELi3EEEJNS0_11LerpFunctorIfEEEEEvT_T0_DpT1_
	.p2align	8
	.type	_ZN2at6native12_GLOBAL__N_125multi_tensor_apply_kernelINS1_18TensorListMetadataILi4EEENS1_20TernaryOpListFunctorIN3c104HalfELi4ELi3ELi3EEEJNS0_11LerpFunctorIfEEEEEvT_T0_DpT1_,@function
_ZN2at6native12_GLOBAL__N_125multi_tensor_apply_kernelINS1_18TensorListMetadataILi4EEENS1_20TernaryOpListFunctorIN3c104HalfELi4ELi3ELi3EEEJNS0_11LerpFunctorIfEEEEEvT_T0_DpT1_: ; @_ZN2at6native12_GLOBAL__N_125multi_tensor_apply_kernelINS1_18TensorListMetadataILi4EEENS1_20TernaryOpListFunctorIN3c104HalfELi4ELi3ELi3EEEJNS0_11LerpFunctorIfEEEEEvT_T0_DpT1_
; %bb.0:
	v_mov_b32_e32 v1, s2
	global_load_ubyte v1, v1, s[0:1] offset:1440
	s_add_u32 s4, s0, s2
	s_mul_hi_u32 s7, s2, 3
	s_mul_i32 s2, s2, 3
	s_addc_u32 s8, s1, 0
	s_add_u32 s6, s4, s2
	s_addc_u32 s7, s8, s7
	s_load_dword s6, s[6:7], 0x6e0
	s_mov_b32 s3, 0
	s_mov_b32 s5, s3
	;; [unrolled: 1-line block ×3, first 2 shown]
	s_waitcnt lgkmcnt(0)
	s_ashr_i32 s7, s6, 31
	s_lshl_b64 s[8:9], s[6:7], 17
	s_waitcnt vmcnt(0)
	v_readfirstlane_b32 s2, v1
	s_lshl_b32 s2, s2, 3
	s_load_dwordx2 s[14:15], s[0:1], s2 offset:0x480
	s_load_dwordx2 s[16:17], s[0:1], s2 offset:0x0
	;; [unrolled: 1-line block ×5, first 2 shown]
	s_waitcnt lgkmcnt(0)
	s_and_b32 s2, s16, 7
	s_add_u32 s4, s18, s8
	s_and_b32 s4, s4, 7
	s_cmp_lg_u64 s[4:5], 0
	s_cselect_b64 s[4:5], -1, 0
	s_add_u32 s10, s20, s8
	s_or_b32 s10, s22, s10
	s_and_b32 s10, s10, 7
	s_cmp_lg_u32 s10, 0
	s_cselect_b64 s[10:11], -1, 0
	s_lshl_b64 s[6:7], s[6:7], 16
	s_or_b64 s[4:5], s[10:11], s[4:5]
	s_sub_u32 s10, s14, s6
	s_subb_u32 s11, s15, s7
	s_and_b32 s12, s14, 3
	s_or_b64 s[2:3], s[2:3], s[12:13]
	s_cmp_lg_u64 s[2:3], 0
	s_cselect_b64 s[2:3], -1, 0
	s_or_b64 s[2:3], s[4:5], s[2:3]
	s_andn2_b64 vcc, exec, s[2:3]
	s_mov_b64 s[2:3], -1
	s_cbranch_vccz .LBB4_5
; %bb.1:
	v_mov_b64_e32 v[4:5], 0x10000
	v_cmp_lt_i64_e32 vcc, s[10:11], v[4:5]
	s_and_b64 s[2:3], vcc, exec
	v_mov_b32_e32 v3, 0
	s_cselect_b32 s13, s11, 0
	s_cselect_b32 s12, s10, 0x10000
	v_lshlrev_b32_e32 v2, 2, v0
	v_cmp_gt_i64_e32 vcc, s[12:13], v[2:3]
	s_and_saveexec_b64 s[14:15], vcc
	s_cbranch_execz .LBB4_4
; %bb.2:
	s_load_dword s2, s[0:1], 0xbfc
	v_mov_b32_e32 v1, v3
	s_mov_b32 s25, 0
	v_lshlrev_b32_e32 v2, 3, v0
	v_lshl_add_u64 v[2:3], s[8:9], 0, v[2:3]
	s_waitcnt lgkmcnt(0)
	s_and_b32 s24, s2, 0xffff
	s_lshl_b32 s26, s24, 3
	s_mov_b32 s27, s25
	s_mov_b64 s[28:29], 0
	v_mov_b64_e32 v[4:5], v[0:1]
.LBB4_3:                                ; =>This Inner Loop Header: Depth=1
	v_lshl_add_u64 v[6:7], s[16:17], 0, v[2:3]
	v_lshl_add_u64 v[8:9], s[18:19], 0, v[2:3]
	;; [unrolled: 1-line block ×3, first 2 shown]
	global_load_dwordx2 v[12:13], v[6:7], off
	global_load_dwordx2 v[14:15], v[8:9], off
	;; [unrolled: 1-line block ×3, first 2 shown]
	v_lshl_add_u64 v[4:5], v[4:5], 0, s[24:25]
	v_lshlrev_b64 v[8:9], 2, v[4:5]
	v_cmp_le_i64_e32 vcc, s[12:13], v[8:9]
	s_or_b64 s[28:29], vcc, s[28:29]
	v_lshl_add_u64 v[6:7], s[22:23], 0, v[2:3]
	v_lshl_add_u64 v[2:3], v[2:3], 0, s[26:27]
	s_waitcnt vmcnt(2)
	v_cvt_f32_f16_sdwa v9, v13 dst_sel:DWORD dst_unused:UNUSED_PAD src0_sel:WORD_1
	v_cvt_f32_f16_e32 v8, v13
	v_cvt_f32_f16_sdwa v11, v12 dst_sel:DWORD dst_unused:UNUSED_PAD src0_sel:WORD_1
	v_cvt_f32_f16_e32 v10, v12
	s_waitcnt vmcnt(1)
	v_cvt_f32_f16_sdwa v13, v15 dst_sel:DWORD dst_unused:UNUSED_PAD src0_sel:WORD_1
	v_cvt_f32_f16_e32 v12, v15
	v_cvt_f32_f16_sdwa v15, v14 dst_sel:DWORD dst_unused:UNUSED_PAD src0_sel:WORD_1
	v_cvt_f32_f16_e32 v14, v14
	;; [unrolled: 5-line block ×3, first 2 shown]
	v_sub_f32_e32 v16, v14, v10
	v_sub_f32_e32 v17, v15, v11
	;; [unrolled: 1-line block ×4, first 2 shown]
	v_sub_f32_e32 v24, 1.0, v18
	v_sub_f32_e32 v25, 1.0, v19
	;; [unrolled: 1-line block ×4, first 2 shown]
	v_pk_fma_f32 v[8:9], v[22:23], v[20:21], v[8:9]
	v_pk_fma_f32 v[10:11], v[16:17], v[18:19], v[10:11]
	v_xor_b32_e32 v22, 0x80000000, v22
	v_xor_b32_e32 v23, 0x80000000, v23
	;; [unrolled: 1-line block ×4, first 2 shown]
	v_pk_fma_f32 v[12:13], v[22:23], v[26:27], v[12:13]
	v_cmp_lt_f32_e64 vcc, |v20|, 0.5
	v_cmp_lt_f32_e64 s[2:3], |v21|, 0.5
	v_pk_fma_f32 v[14:15], v[16:17], v[24:25], v[14:15]
	v_cmp_lt_f32_e64 s[4:5], |v18|, 0.5
	v_cmp_lt_f32_e64 s[6:7], |v19|, 0.5
	v_cndmask_b32_e64 v9, v13, v9, s[2:3]
	v_cndmask_b32_e64 v10, v14, v10, s[4:5]
	;; [unrolled: 1-line block ×3, first 2 shown]
	v_cndmask_b32_e32 v8, v12, v8, vcc
	v_cvt_pk_f16_f32 v9, v8, v9
	v_cvt_pk_f16_f32 v8, v10, v1
	global_store_dwordx2 v[6:7], v[8:9], off
	s_andn2_b64 exec, exec, s[28:29]
	s_cbranch_execnz .LBB4_3
.LBB4_4:
	s_or_b64 exec, exec, s[14:15]
	s_mov_b64 s[2:3], 0
.LBB4_5:
	s_andn2_b64 vcc, exec, s[2:3]
	s_cbranch_vccnz .LBB4_33
; %bb.6:
	v_cmp_lt_i64_e64 s[2:3], s[10:11], 1
	s_and_b64 vcc, exec, s[2:3]
	s_cbranch_vccnz .LBB4_33
; %bb.7:
	s_load_dword s2, s[0:1], 0xbfc
	v_mov_b64_e32 v[2:3], 0x10000
	v_cmp_lt_i64_e32 vcc, s[10:11], v[2:3]
	s_and_b64 s[0:1], vcc, exec
	s_cselect_b32 s7, s11, 0
	s_cselect_b32 s6, s10, 0x10000
	s_waitcnt lgkmcnt(0)
	s_and_b32 s2, s2, 0xffff
	v_cmp_lt_u64_e32 vcc, s[10:11], v[2:3]
	s_mov_b32 s3, 0
	v_mov_b32_e32 v1, 0
	s_and_b64 s[0:1], vcc, exec
	s_cselect_b32 s11, s11, 0
	s_cselect_b32 s10, s10, 0x10000
	s_lshl_b32 s12, s2, 2
	s_mov_b32 s13, s3
	v_lshlrev_b32_e32 v20, 1, v0
	v_mov_b32_e32 v21, v1
	v_lshl_add_u64 v[30:31], v[0:1], 0, s[2:3]
	s_lshl_b32 s0, s2, 1
	s_mov_b32 s1, s3
	s_mul_i32 s4, s2, 3
	s_mov_b32 s5, s3
	v_mad_u64_u32 v[16:17], s[24:25], s2, 6, v[20:21]
	v_lshl_add_u64 v[26:27], s[12:13], 0, v[20:21]
	v_lshlrev_b32_e32 v38, 1, v30
	v_mov_b32_e32 v39, v1
	v_lshl_add_u64 v[2:3], s[16:17], 0, v[20:21]
	s_lshl_b32 s14, s2, 3
	s_mov_b32 s15, s3
	v_lshl_add_u64 v[4:5], s[18:19], 0, v[20:21]
	v_lshl_add_u64 v[6:7], s[20:21], 0, v[20:21]
	;; [unrolled: 1-line block ×17, first 2 shown]
	s_mov_b64 s[16:17], 0
	v_mov_b32_e32 v41, 1.0
	s_branch .LBB4_9
.LBB4_8:                                ;   in Loop: Header=BB4_9 Depth=1
	s_or_b64 exec, exec, s[0:1]
	s_add_u32 s16, s16, s12
	s_addc_u32 s17, s17, 0
	v_mov_b64_e32 v[42:43], s[6:7]
	v_cmp_ge_i64_e32 vcc, s[16:17], v[42:43]
	v_lshl_add_u64 v[2:3], v[2:3], 0, s[14:15]
	v_lshl_add_u64 v[4:5], v[4:5], 0, s[14:15]
	;; [unrolled: 1-line block ×16, first 2 shown]
	s_cbranch_vccnz .LBB4_33
.LBB4_9:                                ; =>This Inner Loop Header: Depth=1
	v_lshl_add_u64 v[42:43], v[0:1], 0, s[16:17]
	v_cmp_gt_u64_e32 vcc, s[10:11], v[42:43]
	v_mov_b32_e32 v40, 0
	v_mov_b32_e32 v42, 0
	s_and_saveexec_b64 s[0:1], vcc
	s_cbranch_execz .LBB4_11
; %bb.10:                               ;   in Loop: Header=BB4_9 Depth=1
	v_lshl_add_u64 v[44:45], v[2:3], 0, s[8:9]
	v_lshl_add_u64 v[42:43], v[4:5], 0, s[8:9]
	global_load_ushort v40, v[44:45], off
	global_load_ushort v46, v[42:43], off
	s_waitcnt vmcnt(1)
	v_cvt_f32_f16_e32 v42, v40
	s_waitcnt vmcnt(0)
	v_cvt_f32_f16_e32 v40, v46
.LBB4_11:                               ;   in Loop: Header=BB4_9 Depth=1
	s_or_b64 exec, exec, s[0:1]
	v_mov_b32_e32 v44, 0
	v_mov_b32_e32 v43, 0
	s_and_saveexec_b64 s[0:1], vcc
	s_cbranch_execz .LBB4_13
; %bb.12:                               ;   in Loop: Header=BB4_9 Depth=1
	v_lshl_add_u64 v[46:47], v[6:7], 0, s[8:9]
	global_load_ushort v43, v[46:47], off
	s_waitcnt vmcnt(0)
	v_cvt_f32_f16_e32 v43, v43
.LBB4_13:                               ;   in Loop: Header=BB4_9 Depth=1
	s_or_b64 exec, exec, s[0:1]
	v_lshl_add_u64 v[46:47], v[30:31], 0, s[16:17]
	v_cmp_gt_u64_e64 s[0:1], s[10:11], v[46:47]
	v_mov_b32_e32 v45, 0
	s_and_saveexec_b64 s[2:3], s[0:1]
	s_cbranch_execz .LBB4_15
; %bb.14:                               ;   in Loop: Header=BB4_9 Depth=1
	v_lshl_add_u64 v[46:47], v[32:33], 0, s[8:9]
	v_lshl_add_u64 v[44:45], v[34:35], 0, s[8:9]
	global_load_ushort v48, v[46:47], off
	global_load_ushort v49, v[44:45], off
	s_waitcnt vmcnt(1)
	v_cvt_f32_f16_e32 v45, v48
	s_waitcnt vmcnt(0)
	v_cvt_f32_f16_e32 v44, v49
.LBB4_15:                               ;   in Loop: Header=BB4_9 Depth=1
	s_or_b64 exec, exec, s[2:3]
	v_mov_b32_e32 v46, 0
	v_mov_b32_e32 v47, 0
	s_and_saveexec_b64 s[2:3], s[0:1]
	s_cbranch_execz .LBB4_17
; %bb.16:                               ;   in Loop: Header=BB4_9 Depth=1
	v_lshl_add_u64 v[48:49], v[36:37], 0, s[8:9]
	global_load_ushort v47, v[48:49], off
	s_waitcnt vmcnt(0)
	v_cvt_f32_f16_e32 v47, v47
.LBB4_17:                               ;   in Loop: Header=BB4_9 Depth=1
	s_or_b64 exec, exec, s[2:3]
	v_lshl_add_u64 v[48:49], v[28:29], 0, s[16:17]
	v_cmp_gt_u64_e64 s[2:3], s[10:11], v[48:49]
	v_mov_b32_e32 v48, 0
	s_and_saveexec_b64 s[4:5], s[2:3]
	s_cbranch_execz .LBB4_19
; %bb.18:                               ;   in Loop: Header=BB4_9 Depth=1
	v_lshl_add_u64 v[50:51], v[20:21], 0, s[8:9]
	v_lshl_add_u64 v[48:49], v[22:23], 0, s[8:9]
	global_load_ushort v46, v[50:51], off
	global_load_ushort v52, v[48:49], off
	s_waitcnt vmcnt(1)
	v_cvt_f32_f16_e32 v48, v46
	s_waitcnt vmcnt(0)
	v_cvt_f32_f16_e32 v46, v52
.LBB4_19:                               ;   in Loop: Header=BB4_9 Depth=1
	s_or_b64 exec, exec, s[4:5]
	v_mov_b32_e32 v49, 0
	v_mov_b32_e32 v50, 0
	s_and_saveexec_b64 s[4:5], s[2:3]
	s_cbranch_execz .LBB4_21
; %bb.20:                               ;   in Loop: Header=BB4_9 Depth=1
	v_lshl_add_u64 v[50:51], v[24:25], 0, s[8:9]
	global_load_ushort v50, v[50:51], off
	s_waitcnt vmcnt(0)
	v_cvt_f32_f16_e32 v50, v50
.LBB4_21:                               ;   in Loop: Header=BB4_9 Depth=1
	s_or_b64 exec, exec, s[4:5]
	v_lshl_add_u64 v[52:53], v[18:19], 0, s[16:17]
	v_cmp_gt_u64_e64 s[4:5], s[10:11], v[52:53]
	v_mov_b32_e32 v51, 0
	s_and_saveexec_b64 s[18:19], s[4:5]
	s_cbranch_execnz .LBB4_27
; %bb.22:                               ;   in Loop: Header=BB4_9 Depth=1
	s_or_b64 exec, exec, s[18:19]
	v_mov_b32_e32 v52, 0
	s_and_saveexec_b64 s[18:19], s[4:5]
	s_cbranch_execnz .LBB4_28
.LBB4_23:                               ;   in Loop: Header=BB4_9 Depth=1
	s_or_b64 exec, exec, s[18:19]
	s_and_saveexec_b64 s[18:19], vcc
	s_cbranch_execnz .LBB4_29
.LBB4_24:                               ;   in Loop: Header=BB4_9 Depth=1
	s_or_b64 exec, exec, s[18:19]
	s_and_saveexec_b64 s[18:19], s[0:1]
	s_cbranch_execnz .LBB4_30
.LBB4_25:                               ;   in Loop: Header=BB4_9 Depth=1
	s_or_b64 exec, exec, s[18:19]
	s_and_saveexec_b64 s[0:1], s[2:3]
	s_cbranch_execnz .LBB4_31
.LBB4_26:                               ;   in Loop: Header=BB4_9 Depth=1
	s_or_b64 exec, exec, s[0:1]
	s_and_saveexec_b64 s[0:1], s[4:5]
	s_cbranch_execz .LBB4_8
	s_branch .LBB4_32
.LBB4_27:                               ;   in Loop: Header=BB4_9 Depth=1
	v_lshl_add_u64 v[54:55], v[10:11], 0, s[8:9]
	v_lshl_add_u64 v[52:53], v[12:13], 0, s[8:9]
	global_load_ushort v49, v[54:55], off
	global_load_ushort v56, v[52:53], off
	s_waitcnt vmcnt(1)
	v_cvt_f32_f16_e32 v51, v49
	s_waitcnt vmcnt(0)
	v_cvt_f32_f16_e32 v49, v56
	s_or_b64 exec, exec, s[18:19]
	v_mov_b32_e32 v52, 0
	s_and_saveexec_b64 s[18:19], s[4:5]
	s_cbranch_execz .LBB4_23
.LBB4_28:                               ;   in Loop: Header=BB4_9 Depth=1
	v_lshl_add_u64 v[52:53], v[14:15], 0, s[8:9]
	global_load_ushort v52, v[52:53], off
	s_waitcnt vmcnt(0)
	v_cvt_f32_f16_e32 v52, v52
	s_or_b64 exec, exec, s[18:19]
	s_and_saveexec_b64 s[18:19], vcc
	s_cbranch_execz .LBB4_24
.LBB4_29:                               ;   in Loop: Header=BB4_9 Depth=1
	v_pk_add_f32 v[54:55], v[40:41], v[42:43] neg_lo:[0,1] neg_hi:[0,1]
	v_cmp_lt_f32_e64 vcc, |v43|, 0.5
	v_fmac_f32_e32 v42, v54, v43
	v_fma_f32 v40, -v54, v55, v40
	v_cndmask_b32_e32 v40, v40, v42, vcc
	v_cvt_f16_f32_e32 v40, v40
	v_lshl_add_u64 v[42:43], v[8:9], 0, s[8:9]
	global_store_short v[42:43], v40, off
	s_or_b64 exec, exec, s[18:19]
	s_and_saveexec_b64 s[18:19], s[0:1]
	s_cbranch_execz .LBB4_25
.LBB4_30:                               ;   in Loop: Header=BB4_9 Depth=1
	v_sub_f32_e32 v40, v44, v45
	v_sub_f32_e32 v42, 1.0, v47
	v_fmac_f32_e32 v45, v40, v47
	v_fma_f32 v40, -v40, v42, v44
	v_cmp_lt_f32_e64 vcc, |v47|, 0.5
	v_lshl_add_u64 v[42:43], v[38:39], 0, s[8:9]
	s_nop 0
	v_cndmask_b32_e32 v40, v40, v45, vcc
	v_cvt_f16_f32_e32 v40, v40
	global_store_short v[42:43], v40, off
	s_or_b64 exec, exec, s[18:19]
	s_and_saveexec_b64 s[0:1], s[2:3]
	s_cbranch_execz .LBB4_26
.LBB4_31:                               ;   in Loop: Header=BB4_9 Depth=1
	v_sub_f32_e32 v40, v46, v48
	v_sub_f32_e32 v42, 1.0, v50
	v_fmac_f32_e32 v48, v40, v50
	v_fma_f32 v40, -v40, v42, v46
	v_cmp_lt_f32_e64 vcc, |v50|, 0.5
	v_lshl_add_u64 v[42:43], v[26:27], 0, s[8:9]
	s_nop 0
	v_cndmask_b32_e32 v40, v40, v48, vcc
	v_cvt_f16_f32_e32 v40, v40
	global_store_short v[42:43], v40, off
	s_or_b64 exec, exec, s[0:1]
	s_and_saveexec_b64 s[0:1], s[4:5]
	s_cbranch_execz .LBB4_8
.LBB4_32:                               ;   in Loop: Header=BB4_9 Depth=1
	v_sub_f32_e32 v40, v49, v51
	v_sub_f32_e32 v42, 1.0, v52
	v_fmac_f32_e32 v51, v40, v52
	v_fma_f32 v40, -v40, v42, v49
	v_cmp_lt_f32_e64 vcc, |v52|, 0.5
	v_lshl_add_u64 v[42:43], v[16:17], 0, s[8:9]
	s_nop 0
	v_cndmask_b32_e32 v40, v40, v51, vcc
	v_cvt_f16_f32_e32 v40, v40
	global_store_short v[42:43], v40, off
	s_branch .LBB4_8
.LBB4_33:
	s_endpgm
	.section	.rodata,"a",@progbits
	.p2align	6, 0x0
	.amdhsa_kernel _ZN2at6native12_GLOBAL__N_125multi_tensor_apply_kernelINS1_18TensorListMetadataILi4EEENS1_20TernaryOpListFunctorIN3c104HalfELi4ELi3ELi3EEEJNS0_11LerpFunctorIfEEEEEvT_T0_DpT1_
		.amdhsa_group_segment_fixed_size 0
		.amdhsa_private_segment_fixed_size 0
		.amdhsa_kernarg_size 3312
		.amdhsa_user_sgpr_count 2
		.amdhsa_user_sgpr_dispatch_ptr 0
		.amdhsa_user_sgpr_queue_ptr 0
		.amdhsa_user_sgpr_kernarg_segment_ptr 1
		.amdhsa_user_sgpr_dispatch_id 0
		.amdhsa_user_sgpr_kernarg_preload_length 0
		.amdhsa_user_sgpr_kernarg_preload_offset 0
		.amdhsa_user_sgpr_private_segment_size 0
		.amdhsa_uses_dynamic_stack 0
		.amdhsa_enable_private_segment 0
		.amdhsa_system_sgpr_workgroup_id_x 1
		.amdhsa_system_sgpr_workgroup_id_y 0
		.amdhsa_system_sgpr_workgroup_id_z 0
		.amdhsa_system_sgpr_workgroup_info 0
		.amdhsa_system_vgpr_workitem_id 0
		.amdhsa_next_free_vgpr 57
		.amdhsa_next_free_sgpr 30
		.amdhsa_accum_offset 60
		.amdhsa_reserve_vcc 1
		.amdhsa_float_round_mode_32 0
		.amdhsa_float_round_mode_16_64 0
		.amdhsa_float_denorm_mode_32 3
		.amdhsa_float_denorm_mode_16_64 3
		.amdhsa_dx10_clamp 1
		.amdhsa_ieee_mode 1
		.amdhsa_fp16_overflow 0
		.amdhsa_tg_split 0
		.amdhsa_exception_fp_ieee_invalid_op 0
		.amdhsa_exception_fp_denorm_src 0
		.amdhsa_exception_fp_ieee_div_zero 0
		.amdhsa_exception_fp_ieee_overflow 0
		.amdhsa_exception_fp_ieee_underflow 0
		.amdhsa_exception_fp_ieee_inexact 0
		.amdhsa_exception_int_div_zero 0
	.end_amdhsa_kernel
	.section	.text._ZN2at6native12_GLOBAL__N_125multi_tensor_apply_kernelINS1_18TensorListMetadataILi4EEENS1_20TernaryOpListFunctorIN3c104HalfELi4ELi3ELi3EEEJNS0_11LerpFunctorIfEEEEEvT_T0_DpT1_,"axG",@progbits,_ZN2at6native12_GLOBAL__N_125multi_tensor_apply_kernelINS1_18TensorListMetadataILi4EEENS1_20TernaryOpListFunctorIN3c104HalfELi4ELi3ELi3EEEJNS0_11LerpFunctorIfEEEEEvT_T0_DpT1_,comdat
.Lfunc_end4:
	.size	_ZN2at6native12_GLOBAL__N_125multi_tensor_apply_kernelINS1_18TensorListMetadataILi4EEENS1_20TernaryOpListFunctorIN3c104HalfELi4ELi3ELi3EEEJNS0_11LerpFunctorIfEEEEEvT_T0_DpT1_, .Lfunc_end4-_ZN2at6native12_GLOBAL__N_125multi_tensor_apply_kernelINS1_18TensorListMetadataILi4EEENS1_20TernaryOpListFunctorIN3c104HalfELi4ELi3ELi3EEEJNS0_11LerpFunctorIfEEEEEvT_T0_DpT1_
                                        ; -- End function
	.set _ZN2at6native12_GLOBAL__N_125multi_tensor_apply_kernelINS1_18TensorListMetadataILi4EEENS1_20TernaryOpListFunctorIN3c104HalfELi4ELi3ELi3EEEJNS0_11LerpFunctorIfEEEEEvT_T0_DpT1_.num_vgpr, 57
	.set _ZN2at6native12_GLOBAL__N_125multi_tensor_apply_kernelINS1_18TensorListMetadataILi4EEENS1_20TernaryOpListFunctorIN3c104HalfELi4ELi3ELi3EEEJNS0_11LerpFunctorIfEEEEEvT_T0_DpT1_.num_agpr, 0
	.set _ZN2at6native12_GLOBAL__N_125multi_tensor_apply_kernelINS1_18TensorListMetadataILi4EEENS1_20TernaryOpListFunctorIN3c104HalfELi4ELi3ELi3EEEJNS0_11LerpFunctorIfEEEEEvT_T0_DpT1_.numbered_sgpr, 30
	.set _ZN2at6native12_GLOBAL__N_125multi_tensor_apply_kernelINS1_18TensorListMetadataILi4EEENS1_20TernaryOpListFunctorIN3c104HalfELi4ELi3ELi3EEEJNS0_11LerpFunctorIfEEEEEvT_T0_DpT1_.num_named_barrier, 0
	.set _ZN2at6native12_GLOBAL__N_125multi_tensor_apply_kernelINS1_18TensorListMetadataILi4EEENS1_20TernaryOpListFunctorIN3c104HalfELi4ELi3ELi3EEEJNS0_11LerpFunctorIfEEEEEvT_T0_DpT1_.private_seg_size, 0
	.set _ZN2at6native12_GLOBAL__N_125multi_tensor_apply_kernelINS1_18TensorListMetadataILi4EEENS1_20TernaryOpListFunctorIN3c104HalfELi4ELi3ELi3EEEJNS0_11LerpFunctorIfEEEEEvT_T0_DpT1_.uses_vcc, 1
	.set _ZN2at6native12_GLOBAL__N_125multi_tensor_apply_kernelINS1_18TensorListMetadataILi4EEENS1_20TernaryOpListFunctorIN3c104HalfELi4ELi3ELi3EEEJNS0_11LerpFunctorIfEEEEEvT_T0_DpT1_.uses_flat_scratch, 0
	.set _ZN2at6native12_GLOBAL__N_125multi_tensor_apply_kernelINS1_18TensorListMetadataILi4EEENS1_20TernaryOpListFunctorIN3c104HalfELi4ELi3ELi3EEEJNS0_11LerpFunctorIfEEEEEvT_T0_DpT1_.has_dyn_sized_stack, 0
	.set _ZN2at6native12_GLOBAL__N_125multi_tensor_apply_kernelINS1_18TensorListMetadataILi4EEENS1_20TernaryOpListFunctorIN3c104HalfELi4ELi3ELi3EEEJNS0_11LerpFunctorIfEEEEEvT_T0_DpT1_.has_recursion, 0
	.set _ZN2at6native12_GLOBAL__N_125multi_tensor_apply_kernelINS1_18TensorListMetadataILi4EEENS1_20TernaryOpListFunctorIN3c104HalfELi4ELi3ELi3EEEJNS0_11LerpFunctorIfEEEEEvT_T0_DpT1_.has_indirect_call, 0
	.section	.AMDGPU.csdata,"",@progbits
; Kernel info:
; codeLenInByte = 1996
; TotalNumSgprs: 36
; NumVgprs: 57
; NumAgprs: 0
; TotalNumVgprs: 57
; ScratchSize: 0
; MemoryBound: 0
; FloatMode: 240
; IeeeMode: 1
; LDSByteSize: 0 bytes/workgroup (compile time only)
; SGPRBlocks: 4
; VGPRBlocks: 7
; NumSGPRsForWavesPerEU: 36
; NumVGPRsForWavesPerEU: 57
; AccumOffset: 60
; Occupancy: 8
; WaveLimiterHint : 0
; COMPUTE_PGM_RSRC2:SCRATCH_EN: 0
; COMPUTE_PGM_RSRC2:USER_SGPR: 2
; COMPUTE_PGM_RSRC2:TRAP_HANDLER: 0
; COMPUTE_PGM_RSRC2:TGID_X_EN: 1
; COMPUTE_PGM_RSRC2:TGID_Y_EN: 0
; COMPUTE_PGM_RSRC2:TGID_Z_EN: 0
; COMPUTE_PGM_RSRC2:TIDIG_COMP_CNT: 0
; COMPUTE_PGM_RSRC3_GFX90A:ACCUM_OFFSET: 14
; COMPUTE_PGM_RSRC3_GFX90A:TG_SPLIT: 0
	.section	.text._ZN2at6native12_GLOBAL__N_125multi_tensor_apply_kernelINS1_18TensorListMetadataILi4EEENS1_20TernaryOpListFunctorIN3c108BFloat16ELi4ELi3ELi3EEEJNS0_11LerpFunctorIfEEEEEvT_T0_DpT1_,"axG",@progbits,_ZN2at6native12_GLOBAL__N_125multi_tensor_apply_kernelINS1_18TensorListMetadataILi4EEENS1_20TernaryOpListFunctorIN3c108BFloat16ELi4ELi3ELi3EEEJNS0_11LerpFunctorIfEEEEEvT_T0_DpT1_,comdat
	.globl	_ZN2at6native12_GLOBAL__N_125multi_tensor_apply_kernelINS1_18TensorListMetadataILi4EEENS1_20TernaryOpListFunctorIN3c108BFloat16ELi4ELi3ELi3EEEJNS0_11LerpFunctorIfEEEEEvT_T0_DpT1_ ; -- Begin function _ZN2at6native12_GLOBAL__N_125multi_tensor_apply_kernelINS1_18TensorListMetadataILi4EEENS1_20TernaryOpListFunctorIN3c108BFloat16ELi4ELi3ELi3EEEJNS0_11LerpFunctorIfEEEEEvT_T0_DpT1_
	.p2align	8
	.type	_ZN2at6native12_GLOBAL__N_125multi_tensor_apply_kernelINS1_18TensorListMetadataILi4EEENS1_20TernaryOpListFunctorIN3c108BFloat16ELi4ELi3ELi3EEEJNS0_11LerpFunctorIfEEEEEvT_T0_DpT1_,@function
_ZN2at6native12_GLOBAL__N_125multi_tensor_apply_kernelINS1_18TensorListMetadataILi4EEENS1_20TernaryOpListFunctorIN3c108BFloat16ELi4ELi3ELi3EEEJNS0_11LerpFunctorIfEEEEEvT_T0_DpT1_: ; @_ZN2at6native12_GLOBAL__N_125multi_tensor_apply_kernelINS1_18TensorListMetadataILi4EEENS1_20TernaryOpListFunctorIN3c108BFloat16ELi4ELi3ELi3EEEJNS0_11LerpFunctorIfEEEEEvT_T0_DpT1_
; %bb.0:
	v_mov_b32_e32 v1, s2
	global_load_ubyte v1, v1, s[0:1] offset:1440
	s_add_u32 s4, s0, s2
	s_mul_hi_u32 s7, s2, 3
	s_mul_i32 s2, s2, 3
	s_addc_u32 s8, s1, 0
	s_add_u32 s6, s4, s2
	s_addc_u32 s7, s8, s7
	s_load_dword s8, s[6:7], 0x6e0
	s_mov_b32 s3, 0
	s_mov_b32 s5, s3
	s_mov_b32 s11, s3
	s_waitcnt lgkmcnt(0)
	s_ashr_i32 s9, s8, 31
	s_lshl_b64 s[6:7], s[8:9], 17
	s_waitcnt vmcnt(0)
	v_readfirstlane_b32 s2, v1
	s_lshl_b32 s2, s2, 3
	s_load_dwordx2 s[14:15], s[0:1], s2 offset:0x480
	s_load_dwordx2 s[16:17], s[0:1], s2 offset:0x0
	;; [unrolled: 1-line block ×5, first 2 shown]
	s_waitcnt lgkmcnt(0)
	s_and_b32 s2, s16, 7
	s_add_u32 s4, s18, s6
	s_and_b32 s4, s4, 7
	s_cmp_lg_u64 s[4:5], 0
	s_cselect_b64 s[4:5], -1, 0
	s_add_u32 s10, s20, s6
	s_or_b32 s10, s22, s10
	s_and_b32 s10, s10, 7
	s_cmp_lg_u32 s10, 0
	s_cselect_b64 s[12:13], -1, 0
	s_lshl_b64 s[8:9], s[8:9], 16
	s_or_b64 s[4:5], s[12:13], s[4:5]
	s_sub_u32 s12, s14, s8
	s_subb_u32 s13, s15, s9
	s_and_b32 s10, s14, 3
	s_or_b64 s[2:3], s[2:3], s[10:11]
	s_cmp_lg_u64 s[2:3], 0
	s_cselect_b64 s[2:3], -1, 0
	s_or_b64 s[2:3], s[4:5], s[2:3]
	s_andn2_b64 vcc, exec, s[2:3]
	s_mov_b64 s[2:3], -1
	s_cbranch_vccz .LBB5_5
; %bb.1:
	v_mov_b64_e32 v[4:5], 0x10000
	v_cmp_lt_i64_e32 vcc, s[12:13], v[4:5]
	s_and_b64 s[2:3], vcc, exec
	v_mov_b32_e32 v3, 0
	s_cselect_b32 s9, s13, 0
	s_cselect_b32 s8, s12, 0x10000
	v_lshlrev_b32_e32 v2, 2, v0
	v_cmp_gt_i64_e32 vcc, s[8:9], v[2:3]
	s_and_saveexec_b64 s[10:11], vcc
	s_cbranch_execz .LBB5_4
; %bb.2:
	s_load_dword s2, s[0:1], 0xbfc
	v_mov_b32_e32 v1, v3
	s_mov_b32 s15, 0
	v_lshlrev_b32_e32 v2, 3, v0
	v_lshl_add_u64 v[2:3], s[6:7], 0, v[2:3]
	s_waitcnt lgkmcnt(0)
	s_and_b32 s14, s2, 0xffff
	s_lshl_b32 s24, s14, 3
	s_mov_b32 s25, s15
	s_mov_b64 s[26:27], 0
	s_movk_i32 s28, 0x7fff
	v_mov_b32_e32 v6, 0x7fc0
	v_mov_b32_e32 v7, 0x7fc00000
	v_mov_b64_e32 v[4:5], v[0:1]
.LBB5_3:                                ; =>This Inner Loop Header: Depth=1
	v_lshl_add_u64 v[8:9], s[16:17], 0, v[2:3]
	v_lshl_add_u64 v[10:11], s[18:19], 0, v[2:3]
	;; [unrolled: 1-line block ×3, first 2 shown]
	global_load_dwordx2 v[14:15], v[8:9], off
	global_load_dwordx2 v[16:17], v[10:11], off
	;; [unrolled: 1-line block ×3, first 2 shown]
	v_lshl_add_u64 v[4:5], v[4:5], 0, s[14:15]
	v_lshlrev_b64 v[10:11], 2, v[4:5]
	v_cmp_le_i64_e32 vcc, s[8:9], v[10:11]
	s_or_b64 s[26:27], vcc, s[26:27]
	v_lshl_add_u64 v[8:9], s[22:23], 0, v[2:3]
	v_lshl_add_u64 v[2:3], v[2:3], 0, s[24:25]
	s_waitcnt vmcnt(2)
	v_lshlrev_b32_e32 v1, 16, v14
	s_waitcnt vmcnt(1)
	v_lshlrev_b32_e32 v10, 16, v16
	s_waitcnt vmcnt(0)
	v_lshlrev_b32_e32 v11, 16, v18
	v_and_b32_e32 v12, 0xffff0000, v14
	v_and_b32_e32 v13, 0xffff0000, v16
	;; [unrolled: 1-line block ×3, first 2 shown]
	v_alignbit_b32 v14, v15, v14, 16
	v_alignbit_b32 v16, v17, v16, 16
	;; [unrolled: 1-line block ×3, first 2 shown]
	v_and_b32_e32 v15, 0xffff0000, v15
	v_and_b32_e32 v17, 0xffff0000, v17
	;; [unrolled: 1-line block ×3, first 2 shown]
	v_sub_f32_e32 v21, v10, v1
	v_sub_f32_e32 v22, 1.0, v11
	v_sub_f32_e32 v23, v13, v12
	v_sub_f32_e32 v24, 1.0, v20
	v_and_b32_e32 v14, 0xffff0000, v14
	v_and_b32_e32 v16, 0xffff0000, v16
	;; [unrolled: 1-line block ×3, first 2 shown]
	v_sub_f32_e32 v25, v17, v15
	v_sub_f32_e32 v26, 1.0, v19
	v_fmac_f32_e32 v1, v21, v11
	v_fma_f32 v10, -v21, v22, v10
	v_fmac_f32_e32 v12, v23, v20
	v_fma_f32 v13, -v23, v24, v13
	v_cmp_lt_f32_e64 vcc, |v20|, 0.5
	v_sub_f32_e32 v20, v16, v14
	v_sub_f32_e32 v21, 1.0, v18
	v_cmp_lt_f32_e64 s[4:5], |v11|, 0.5
	v_fmac_f32_e32 v15, v25, v19
	v_fma_f32 v17, -v25, v26, v17
	v_cmp_lt_f32_e64 s[2:3], |v19|, 0.5
	v_cndmask_b32_e64 v1, v10, v1, s[4:5]
	v_cndmask_b32_e32 v10, v13, v12, vcc
	v_fmac_f32_e32 v14, v20, v18
	v_fma_f32 v11, -v20, v21, v16
	v_cmp_lt_f32_e64 vcc, |v18|, 0.5
	v_cndmask_b32_e64 v12, v17, v15, s[2:3]
	v_bfe_u32 v13, v1, 16, 1
	v_bfe_u32 v15, v10, 16, 1
	v_cndmask_b32_e32 v11, v11, v14, vcc
	v_bfe_u32 v14, v12, 16, 1
	v_add3_u32 v13, v1, v13, s28
	v_add3_u32 v15, v10, v15, s28
	v_bfe_u32 v16, v11, 16, 1
	v_add3_u32 v14, v12, v14, s28
	v_lshrrev_b32_e32 v13, 16, v13
	v_and_b32_e32 v15, 0xffff0000, v15
	v_cmp_o_f32_e32 vcc, v10, v10
	v_add3_u32 v10, v11, v16, s28
	v_cmp_o_f32_e64 s[4:5], v1, v1
	v_and_b32_e32 v14, 0xffff0000, v14
	v_cmp_o_f32_e64 s[2:3], v12, v12
	v_cndmask_b32_e64 v1, v6, v13, s[4:5]
	v_cndmask_b32_e32 v12, v7, v15, vcc
	v_lshrrev_b32_e32 v10, 16, v10
	v_cmp_o_f32_e32 vcc, v11, v11
	v_cndmask_b32_e64 v11, v7, v14, s[2:3]
	v_or_b32_e32 v1, v1, v12
	v_cndmask_b32_e32 v10, v6, v10, vcc
	v_or3_b32 v11, 0, v10, v11
	v_or3_b32 v10, v1, 0, 0
	global_store_dwordx2 v[8:9], v[10:11], off
	s_andn2_b64 exec, exec, s[26:27]
	s_cbranch_execnz .LBB5_3
.LBB5_4:
	s_or_b64 exec, exec, s[10:11]
	s_mov_b64 s[2:3], 0
.LBB5_5:
	s_andn2_b64 vcc, exec, s[2:3]
	s_cbranch_vccnz .LBB5_33
; %bb.6:
	v_cmp_lt_i64_e64 s[2:3], s[12:13], 1
	s_and_b64 vcc, exec, s[2:3]
	s_cbranch_vccnz .LBB5_33
; %bb.7:
	s_load_dword s0, s[0:1], 0xbfc
	v_mov_b64_e32 v[4:5], 0x10000
	v_cmp_lt_i64_e32 vcc, s[12:13], v[4:5]
	s_and_b64 s[2:3], vcc, exec
	s_mov_b32 s9, 0
	s_cselect_b32 s11, s13, 0
	s_cselect_b32 s10, s12, 0x10000
	v_mov_b32_e32 v2, 0
	s_waitcnt lgkmcnt(0)
	s_and_b32 s0, s0, 0xffff
	v_cmp_lt_u64_e32 vcc, s[12:13], v[4:5]
	v_mov_b32_e32 v1, v2
	s_and_b64 s[2:3], vcc, exec
	s_mov_b32 s1, s9
	s_cselect_b32 s13, s13, 0
	s_cselect_b32 s12, s12, 0x10000
	s_lshl_b32 s8, s0, 2
	v_lshlrev_b32_e32 v22, 1, v0
	v_mov_b32_e32 v23, v2
	v_lshl_add_u64 v[32:33], v[0:1], 0, s[0:1]
	s_lshl_b32 s2, s0, 1
	s_mov_b32 s3, s9
	s_mul_i32 s4, s0, 3
	s_mov_b32 s5, s9
	v_mad_u64_u32 v[18:19], s[24:25], s0, 6, v[22:23]
	v_lshl_add_u64 v[28:29], s[8:9], 0, v[22:23]
	v_lshlrev_b32_e32 v40, 1, v32
	v_mov_b32_e32 v41, v2
	v_lshl_add_u64 v[4:5], s[16:17], 0, v[22:23]
	s_lshl_b32 s14, s0, 3
	s_mov_b32 s15, s9
	v_lshl_add_u64 v[6:7], s[18:19], 0, v[22:23]
	v_lshl_add_u64 v[8:9], s[20:21], 0, v[22:23]
	;; [unrolled: 1-line block ×17, first 2 shown]
	s_mov_b64 s[16:17], 0
	v_mov_b32_e32 v43, 1.0
	s_movk_i32 s20, 0x7fff
	v_mov_b32_e32 v50, 0x7fc0
	s_branch .LBB5_9
.LBB5_8:                                ;   in Loop: Header=BB5_9 Depth=1
	s_or_b64 exec, exec, s[0:1]
	s_add_u32 s16, s16, s8
	s_addc_u32 s17, s17, 0
	v_mov_b64_e32 v[44:45], s[10:11]
	v_cmp_ge_i64_e32 vcc, s[16:17], v[44:45]
	v_lshl_add_u64 v[4:5], v[4:5], 0, s[14:15]
	v_lshl_add_u64 v[6:7], v[6:7], 0, s[14:15]
	;; [unrolled: 1-line block ×16, first 2 shown]
	s_cbranch_vccnz .LBB5_33
.LBB5_9:                                ; =>This Inner Loop Header: Depth=1
	v_lshl_add_u64 v[44:45], v[0:1], 0, s[16:17]
	v_cmp_gt_u64_e32 vcc, s[12:13], v[44:45]
	v_mov_b64_e32 v[44:45], 0
	v_mov_b64_e32 v[48:49], 0
	;; [unrolled: 1-line block ×3, first 2 shown]
	s_and_saveexec_b64 s[0:1], vcc
	s_cbranch_execz .LBB5_11
; %bb.10:                               ;   in Loop: Header=BB5_9 Depth=1
	v_lshl_add_u64 v[48:49], v[4:5], 0, s[6:7]
	v_lshl_add_u64 v[46:47], v[6:7], 0, s[6:7]
	global_load_ushort v3, v[48:49], off
	global_load_ushort v42, v[46:47], off
	v_mov_b32_e32 v47, s9
	v_mov_b32_e32 v49, s9
	s_waitcnt vmcnt(1)
	v_and_b32_e32 v46, 0xffff, v3
	s_waitcnt vmcnt(0)
	v_and_b32_e32 v48, 0xffff, v42
.LBB5_11:                               ;   in Loop: Header=BB5_9 Depth=1
	s_or_b64 exec, exec, s[0:1]
	s_and_saveexec_b64 s[0:1], vcc
	s_cbranch_execz .LBB5_13
; %bb.12:                               ;   in Loop: Header=BB5_9 Depth=1
	v_lshl_add_u64 v[44:45], v[8:9], 0, s[6:7]
	global_load_ushort v3, v[44:45], off
	v_mov_b32_e32 v45, s9
	s_waitcnt vmcnt(0)
	v_and_b32_e32 v44, 0xffff, v3
.LBB5_13:                               ;   in Loop: Header=BB5_9 Depth=1
	s_or_b64 exec, exec, s[0:1]
	v_lshl_add_u64 v[52:53], v[32:33], 0, s[16:17]
	v_cmp_gt_u64_e64 s[0:1], s[12:13], v[52:53]
	s_and_saveexec_b64 s[2:3], s[0:1]
	s_cbranch_execz .LBB5_15
; %bb.14:                               ;   in Loop: Header=BB5_9 Depth=1
	v_lshl_add_u64 v[52:53], v[34:35], 0, s[6:7]
	global_load_ushort v3, v[52:53], off
	v_lshl_add_u64 v[52:53], v[36:37], 0, s[6:7]
	global_load_ushort v42, v[52:53], off
	s_waitcnt vmcnt(1)
	v_lshl_or_b32 v46, v3, 16, v46
	s_waitcnt vmcnt(0)
	v_lshl_or_b32 v48, v42, 16, v48
.LBB5_15:                               ;   in Loop: Header=BB5_9 Depth=1
	s_or_b64 exec, exec, s[2:3]
	s_and_saveexec_b64 s[2:3], s[0:1]
	s_cbranch_execz .LBB5_17
; %bb.16:                               ;   in Loop: Header=BB5_9 Depth=1
	v_lshl_add_u64 v[52:53], v[38:39], 0, s[6:7]
	global_load_ushort v3, v[52:53], off
	s_waitcnt vmcnt(0)
	v_lshl_or_b32 v44, v3, 16, v44
.LBB5_17:                               ;   in Loop: Header=BB5_9 Depth=1
	s_or_b64 exec, exec, s[2:3]
	v_lshl_add_u64 v[52:53], v[30:31], 0, s[16:17]
	v_cmp_gt_u64_e64 s[2:3], s[12:13], v[52:53]
	v_cmp_le_u64_e64 s[4:5], s[12:13], v[52:53]
	s_and_saveexec_b64 s[18:19], s[4:5]
	s_xor_b64 s[4:5], exec, s[18:19]
	s_andn2_saveexec_b64 s[4:5], s[4:5]
	s_cbranch_execz .LBB5_19
; %bb.18:                               ;   in Loop: Header=BB5_9 Depth=1
	v_lshl_add_u64 v[52:53], v[22:23], 0, s[6:7]
	global_load_ushort v3, v[52:53], off
	v_lshl_add_u64 v[52:53], v[24:25], 0, s[6:7]
	global_load_ushort v42, v[52:53], off
	s_waitcnt vmcnt(1)
	v_or_b32_e32 v47, v3, v47
	s_waitcnt vmcnt(0)
	v_or_b32_e32 v49, v42, v49
.LBB5_19:                               ;   in Loop: Header=BB5_9 Depth=1
	s_or_b64 exec, exec, s[4:5]
	s_and_saveexec_b64 s[4:5], s[2:3]
	s_cbranch_execz .LBB5_21
; %bb.20:                               ;   in Loop: Header=BB5_9 Depth=1
	v_lshl_add_u64 v[52:53], v[26:27], 0, s[6:7]
	global_load_ushort v3, v[52:53], off
	s_waitcnt vmcnt(0)
	v_or_b32_e32 v45, v3, v45
.LBB5_21:                               ;   in Loop: Header=BB5_9 Depth=1
	s_or_b64 exec, exec, s[4:5]
	v_lshl_add_u64 v[52:53], v[20:21], 0, s[16:17]
	v_cmp_gt_u64_e64 s[4:5], s[12:13], v[52:53]
	s_and_saveexec_b64 s[18:19], s[4:5]
	s_cbranch_execnz .LBB5_27
; %bb.22:                               ;   in Loop: Header=BB5_9 Depth=1
	s_or_b64 exec, exec, s[18:19]
	s_and_saveexec_b64 s[18:19], s[4:5]
	s_cbranch_execnz .LBB5_28
.LBB5_23:                               ;   in Loop: Header=BB5_9 Depth=1
	s_or_b64 exec, exec, s[18:19]
	s_and_saveexec_b64 s[18:19], vcc
	s_cbranch_execnz .LBB5_29
.LBB5_24:                               ;   in Loop: Header=BB5_9 Depth=1
	s_or_b64 exec, exec, s[18:19]
	s_and_saveexec_b64 s[18:19], s[0:1]
	s_cbranch_execnz .LBB5_30
.LBB5_25:                               ;   in Loop: Header=BB5_9 Depth=1
	s_or_b64 exec, exec, s[18:19]
	s_and_saveexec_b64 s[0:1], s[2:3]
	s_cbranch_execnz .LBB5_31
.LBB5_26:                               ;   in Loop: Header=BB5_9 Depth=1
	s_or_b64 exec, exec, s[0:1]
	s_and_saveexec_b64 s[0:1], s[4:5]
	s_cbranch_execz .LBB5_8
	s_branch .LBB5_32
.LBB5_27:                               ;   in Loop: Header=BB5_9 Depth=1
	v_lshl_add_u64 v[52:53], v[12:13], 0, s[6:7]
	global_load_ushort v3, v[52:53], off
	v_lshl_add_u64 v[52:53], v[14:15], 0, s[6:7]
	global_load_ushort v42, v[52:53], off
	s_waitcnt vmcnt(1)
	v_lshlrev_b32_e32 v51, 16, v3
	v_or_b32_e32 v47, v51, v47
	s_waitcnt vmcnt(0)
	v_lshlrev_b32_e32 v3, 16, v42
	v_lshl_add_u64 v[48:49], v[2:3], 0, v[48:49]
	s_or_b64 exec, exec, s[18:19]
	s_and_saveexec_b64 s[18:19], s[4:5]
	s_cbranch_execz .LBB5_23
.LBB5_28:                               ;   in Loop: Header=BB5_9 Depth=1
	v_lshl_add_u64 v[52:53], v[16:17], 0, s[6:7]
	global_load_ushort v3, v[52:53], off
	s_waitcnt vmcnt(0)
	v_lshlrev_b32_e32 v3, 16, v3
	v_or_b32_e32 v45, v3, v45
	s_or_b64 exec, exec, s[18:19]
	s_and_saveexec_b64 s[18:19], vcc
	s_cbranch_execz .LBB5_24
.LBB5_29:                               ;   in Loop: Header=BB5_9 Depth=1
	v_lshlrev_b32_e32 v53, 16, v44
	v_lshlrev_b32_e32 v52, 16, v46
	;; [unrolled: 1-line block ×3, first 2 shown]
	v_pk_add_f32 v[54:55], v[42:43], v[52:53] neg_lo:[0,1] neg_hi:[0,1]
	v_cmp_lt_f32_e64 vcc, |v53|, 0.5
	v_fmac_f32_e32 v52, v54, v53
	v_fma_f32 v3, -v54, v55, v42
	v_cndmask_b32_e32 v3, v3, v52, vcc
	v_bfe_u32 v42, v3, 16, 1
	v_add3_u32 v42, v3, v42, s20
	v_cmp_o_f32_e32 vcc, v3, v3
	v_lshl_add_u64 v[52:53], v[10:11], 0, s[6:7]
	s_nop 0
	v_cndmask_b32_sdwa v3, v50, v42, vcc dst_sel:DWORD dst_unused:UNUSED_PAD src0_sel:DWORD src1_sel:WORD_1
	global_store_short v[52:53], v3, off
	s_or_b64 exec, exec, s[18:19]
	s_and_saveexec_b64 s[18:19], s[0:1]
	s_cbranch_execz .LBB5_25
.LBB5_30:                               ;   in Loop: Header=BB5_9 Depth=1
	v_and_b32_e32 v42, 0xffff0000, v48
	v_and_b32_e32 v53, 0xffff0000, v44
	;; [unrolled: 1-line block ×3, first 2 shown]
	v_pk_add_f32 v[54:55], v[42:43], v[52:53] neg_lo:[0,1] neg_hi:[0,1]
	v_cmp_lt_f32_e64 vcc, |v53|, 0.5
	v_fmac_f32_e32 v52, v54, v53
	v_fma_f32 v3, -v54, v55, v42
	v_cndmask_b32_e32 v3, v3, v52, vcc
	v_bfe_u32 v42, v3, 16, 1
	v_add3_u32 v42, v3, v42, s20
	v_cmp_o_f32_e32 vcc, v3, v3
	v_lshl_add_u64 v[52:53], v[40:41], 0, s[6:7]
	s_nop 0
	v_cndmask_b32_sdwa v3, v50, v42, vcc dst_sel:DWORD dst_unused:UNUSED_PAD src0_sel:DWORD src1_sel:WORD_1
	global_store_short v[52:53], v3, off
	s_or_b64 exec, exec, s[18:19]
	s_and_saveexec_b64 s[0:1], s[2:3]
	s_cbranch_execz .LBB5_26
.LBB5_31:                               ;   in Loop: Header=BB5_9 Depth=1
	v_alignbit_b32 v3, v49, v48, 16
	v_and_b32_e32 v42, 0xffff0000, v3
	v_alignbit_b32 v3, v45, v44, 16
	v_alignbit_b32 v44, v47, v46, 16
	v_and_b32_e32 v53, 0xffff0000, v3
	v_and_b32_e32 v52, 0xffff0000, v44
	v_pk_add_f32 v[54:55], v[42:43], v[52:53] neg_lo:[0,1] neg_hi:[0,1]
	v_cmp_lt_f32_e64 vcc, |v53|, 0.5
	v_fmac_f32_e32 v52, v54, v53
	v_fma_f32 v3, -v54, v55, v42
	v_cndmask_b32_e32 v3, v3, v52, vcc
	v_bfe_u32 v42, v3, 16, 1
	v_add3_u32 v42, v3, v42, s20
	v_cmp_o_f32_e32 vcc, v3, v3
	v_lshl_add_u64 v[52:53], v[28:29], 0, s[6:7]
	s_nop 0
	v_cndmask_b32_sdwa v3, v50, v42, vcc dst_sel:DWORD dst_unused:UNUSED_PAD src0_sel:DWORD src1_sel:WORD_1
	global_store_short v[52:53], v3, off
	s_or_b64 exec, exec, s[0:1]
	s_and_saveexec_b64 s[0:1], s[4:5]
	s_cbranch_execz .LBB5_8
.LBB5_32:                               ;   in Loop: Header=BB5_9 Depth=1
	v_and_b32_e32 v42, 0xffff0000, v49
	v_and_b32_e32 v45, 0xffff0000, v45
	;; [unrolled: 1-line block ×3, first 2 shown]
	v_pk_add_f32 v[46:47], v[42:43], v[44:45] neg_lo:[0,1] neg_hi:[0,1]
	v_cmp_lt_f32_e64 vcc, |v45|, 0.5
	v_fmac_f32_e32 v44, v46, v45
	v_fma_f32 v3, -v46, v47, v42
	v_cndmask_b32_e32 v3, v3, v44, vcc
	v_bfe_u32 v42, v3, 16, 1
	v_add3_u32 v42, v3, v42, s20
	v_cmp_o_f32_e32 vcc, v3, v3
	v_lshl_add_u64 v[44:45], v[18:19], 0, s[6:7]
	s_nop 0
	v_cndmask_b32_sdwa v3, v50, v42, vcc dst_sel:DWORD dst_unused:UNUSED_PAD src0_sel:DWORD src1_sel:WORD_1
	global_store_short v[44:45], v3, off
	s_branch .LBB5_8
.LBB5_33:
	s_endpgm
	.section	.rodata,"a",@progbits
	.p2align	6, 0x0
	.amdhsa_kernel _ZN2at6native12_GLOBAL__N_125multi_tensor_apply_kernelINS1_18TensorListMetadataILi4EEENS1_20TernaryOpListFunctorIN3c108BFloat16ELi4ELi3ELi3EEEJNS0_11LerpFunctorIfEEEEEvT_T0_DpT1_
		.amdhsa_group_segment_fixed_size 0
		.amdhsa_private_segment_fixed_size 0
		.amdhsa_kernarg_size 3312
		.amdhsa_user_sgpr_count 2
		.amdhsa_user_sgpr_dispatch_ptr 0
		.amdhsa_user_sgpr_queue_ptr 0
		.amdhsa_user_sgpr_kernarg_segment_ptr 1
		.amdhsa_user_sgpr_dispatch_id 0
		.amdhsa_user_sgpr_kernarg_preload_length 0
		.amdhsa_user_sgpr_kernarg_preload_offset 0
		.amdhsa_user_sgpr_private_segment_size 0
		.amdhsa_uses_dynamic_stack 0
		.amdhsa_enable_private_segment 0
		.amdhsa_system_sgpr_workgroup_id_x 1
		.amdhsa_system_sgpr_workgroup_id_y 0
		.amdhsa_system_sgpr_workgroup_id_z 0
		.amdhsa_system_sgpr_workgroup_info 0
		.amdhsa_system_vgpr_workitem_id 0
		.amdhsa_next_free_vgpr 56
		.amdhsa_next_free_sgpr 29
		.amdhsa_accum_offset 56
		.amdhsa_reserve_vcc 1
		.amdhsa_float_round_mode_32 0
		.amdhsa_float_round_mode_16_64 0
		.amdhsa_float_denorm_mode_32 3
		.amdhsa_float_denorm_mode_16_64 3
		.amdhsa_dx10_clamp 1
		.amdhsa_ieee_mode 1
		.amdhsa_fp16_overflow 0
		.amdhsa_tg_split 0
		.amdhsa_exception_fp_ieee_invalid_op 0
		.amdhsa_exception_fp_denorm_src 0
		.amdhsa_exception_fp_ieee_div_zero 0
		.amdhsa_exception_fp_ieee_overflow 0
		.amdhsa_exception_fp_ieee_underflow 0
		.amdhsa_exception_fp_ieee_inexact 0
		.amdhsa_exception_int_div_zero 0
	.end_amdhsa_kernel
	.section	.text._ZN2at6native12_GLOBAL__N_125multi_tensor_apply_kernelINS1_18TensorListMetadataILi4EEENS1_20TernaryOpListFunctorIN3c108BFloat16ELi4ELi3ELi3EEEJNS0_11LerpFunctorIfEEEEEvT_T0_DpT1_,"axG",@progbits,_ZN2at6native12_GLOBAL__N_125multi_tensor_apply_kernelINS1_18TensorListMetadataILi4EEENS1_20TernaryOpListFunctorIN3c108BFloat16ELi4ELi3ELi3EEEJNS0_11LerpFunctorIfEEEEEvT_T0_DpT1_,comdat
.Lfunc_end5:
	.size	_ZN2at6native12_GLOBAL__N_125multi_tensor_apply_kernelINS1_18TensorListMetadataILi4EEENS1_20TernaryOpListFunctorIN3c108BFloat16ELi4ELi3ELi3EEEJNS0_11LerpFunctorIfEEEEEvT_T0_DpT1_, .Lfunc_end5-_ZN2at6native12_GLOBAL__N_125multi_tensor_apply_kernelINS1_18TensorListMetadataILi4EEENS1_20TernaryOpListFunctorIN3c108BFloat16ELi4ELi3ELi3EEEJNS0_11LerpFunctorIfEEEEEvT_T0_DpT1_
                                        ; -- End function
	.set _ZN2at6native12_GLOBAL__N_125multi_tensor_apply_kernelINS1_18TensorListMetadataILi4EEENS1_20TernaryOpListFunctorIN3c108BFloat16ELi4ELi3ELi3EEEJNS0_11LerpFunctorIfEEEEEvT_T0_DpT1_.num_vgpr, 56
	.set _ZN2at6native12_GLOBAL__N_125multi_tensor_apply_kernelINS1_18TensorListMetadataILi4EEENS1_20TernaryOpListFunctorIN3c108BFloat16ELi4ELi3ELi3EEEJNS0_11LerpFunctorIfEEEEEvT_T0_DpT1_.num_agpr, 0
	.set _ZN2at6native12_GLOBAL__N_125multi_tensor_apply_kernelINS1_18TensorListMetadataILi4EEENS1_20TernaryOpListFunctorIN3c108BFloat16ELi4ELi3ELi3EEEJNS0_11LerpFunctorIfEEEEEvT_T0_DpT1_.numbered_sgpr, 29
	.set _ZN2at6native12_GLOBAL__N_125multi_tensor_apply_kernelINS1_18TensorListMetadataILi4EEENS1_20TernaryOpListFunctorIN3c108BFloat16ELi4ELi3ELi3EEEJNS0_11LerpFunctorIfEEEEEvT_T0_DpT1_.num_named_barrier, 0
	.set _ZN2at6native12_GLOBAL__N_125multi_tensor_apply_kernelINS1_18TensorListMetadataILi4EEENS1_20TernaryOpListFunctorIN3c108BFloat16ELi4ELi3ELi3EEEJNS0_11LerpFunctorIfEEEEEvT_T0_DpT1_.private_seg_size, 0
	.set _ZN2at6native12_GLOBAL__N_125multi_tensor_apply_kernelINS1_18TensorListMetadataILi4EEENS1_20TernaryOpListFunctorIN3c108BFloat16ELi4ELi3ELi3EEEJNS0_11LerpFunctorIfEEEEEvT_T0_DpT1_.uses_vcc, 1
	.set _ZN2at6native12_GLOBAL__N_125multi_tensor_apply_kernelINS1_18TensorListMetadataILi4EEENS1_20TernaryOpListFunctorIN3c108BFloat16ELi4ELi3ELi3EEEJNS0_11LerpFunctorIfEEEEEvT_T0_DpT1_.uses_flat_scratch, 0
	.set _ZN2at6native12_GLOBAL__N_125multi_tensor_apply_kernelINS1_18TensorListMetadataILi4EEENS1_20TernaryOpListFunctorIN3c108BFloat16ELi4ELi3ELi3EEEJNS0_11LerpFunctorIfEEEEEvT_T0_DpT1_.has_dyn_sized_stack, 0
	.set _ZN2at6native12_GLOBAL__N_125multi_tensor_apply_kernelINS1_18TensorListMetadataILi4EEENS1_20TernaryOpListFunctorIN3c108BFloat16ELi4ELi3ELi3EEEJNS0_11LerpFunctorIfEEEEEvT_T0_DpT1_.has_recursion, 0
	.set _ZN2at6native12_GLOBAL__N_125multi_tensor_apply_kernelINS1_18TensorListMetadataILi4EEENS1_20TernaryOpListFunctorIN3c108BFloat16ELi4ELi3ELi3EEEJNS0_11LerpFunctorIfEEEEEvT_T0_DpT1_.has_indirect_call, 0
	.section	.AMDGPU.csdata,"",@progbits
; Kernel info:
; codeLenInByte = 2424
; TotalNumSgprs: 35
; NumVgprs: 56
; NumAgprs: 0
; TotalNumVgprs: 56
; ScratchSize: 0
; MemoryBound: 0
; FloatMode: 240
; IeeeMode: 1
; LDSByteSize: 0 bytes/workgroup (compile time only)
; SGPRBlocks: 4
; VGPRBlocks: 6
; NumSGPRsForWavesPerEU: 35
; NumVGPRsForWavesPerEU: 56
; AccumOffset: 56
; Occupancy: 8
; WaveLimiterHint : 0
; COMPUTE_PGM_RSRC2:SCRATCH_EN: 0
; COMPUTE_PGM_RSRC2:USER_SGPR: 2
; COMPUTE_PGM_RSRC2:TRAP_HANDLER: 0
; COMPUTE_PGM_RSRC2:TGID_X_EN: 1
; COMPUTE_PGM_RSRC2:TGID_Y_EN: 0
; COMPUTE_PGM_RSRC2:TGID_Z_EN: 0
; COMPUTE_PGM_RSRC2:TIDIG_COMP_CNT: 0
; COMPUTE_PGM_RSRC3_GFX90A:ACCUM_OFFSET: 13
; COMPUTE_PGM_RSRC3_GFX90A:TG_SPLIT: 0
	.section	.text._ZN2at6native12_GLOBAL__N_125multi_tensor_apply_kernelINS1_18TensorListMetadataILi3EEENS1_20TernaryOpListFunctorIdLi3ELi3ELi0EEEJNS0_11LerpFunctorIdEEEEEvT_T0_DpT1_,"axG",@progbits,_ZN2at6native12_GLOBAL__N_125multi_tensor_apply_kernelINS1_18TensorListMetadataILi3EEENS1_20TernaryOpListFunctorIdLi3ELi3ELi0EEEJNS0_11LerpFunctorIdEEEEEvT_T0_DpT1_,comdat
	.globl	_ZN2at6native12_GLOBAL__N_125multi_tensor_apply_kernelINS1_18TensorListMetadataILi3EEENS1_20TernaryOpListFunctorIdLi3ELi3ELi0EEEJNS0_11LerpFunctorIdEEEEEvT_T0_DpT1_ ; -- Begin function _ZN2at6native12_GLOBAL__N_125multi_tensor_apply_kernelINS1_18TensorListMetadataILi3EEENS1_20TernaryOpListFunctorIdLi3ELi3ELi0EEEJNS0_11LerpFunctorIdEEEEEvT_T0_DpT1_
	.p2align	8
	.type	_ZN2at6native12_GLOBAL__N_125multi_tensor_apply_kernelINS1_18TensorListMetadataILi3EEENS1_20TernaryOpListFunctorIdLi3ELi3ELi0EEEJNS0_11LerpFunctorIdEEEEEvT_T0_DpT1_,@function
_ZN2at6native12_GLOBAL__N_125multi_tensor_apply_kernelINS1_18TensorListMetadataILi3EEENS1_20TernaryOpListFunctorIdLi3ELi3ELi0EEEJNS0_11LerpFunctorIdEEEEEvT_T0_DpT1_: ; @_ZN2at6native12_GLOBAL__N_125multi_tensor_apply_kernelINS1_18TensorListMetadataILi3EEENS1_20TernaryOpListFunctorIdLi3ELi3ELi0EEEJNS0_11LerpFunctorIdEEEEEvT_T0_DpT1_
; %bb.0:
	v_mov_b32_e32 v1, s2
	global_load_ubyte v1, v1, s[0:1] offset:1536
	s_add_u32 s3, s0, s2
	s_mul_hi_u32 s4, s2, 3
	s_mul_i32 s2, s2, 3
	s_addc_u32 s5, s1, 0
	s_add_u32 s2, s3, s2
	s_addc_u32 s3, s5, s4
	s_load_dword s2, s[2:3], 0x740
	s_mov_b32 s5, 0
	s_mov_b32 s7, s5
	s_waitcnt lgkmcnt(0)
	s_ashr_i32 s3, s2, 31
	s_lshl_b64 s[8:9], s[2:3], 19
	s_waitcnt vmcnt(0)
	v_readfirstlane_b32 s4, v1
	s_lshl_b32 s4, s4, 3
	s_load_dwordx2 s[14:15], s[0:1], s4 offset:0x0
	s_load_dwordx2 s[24:25], s[0:1], s4 offset:0x480
	;; [unrolled: 1-line block ×4, first 2 shown]
	s_waitcnt lgkmcnt(0)
	s_add_u32 s12, s14, s8
	s_addc_u32 s13, s15, s9
	s_and_b32 s4, s12, 31
	s_add_u32 s20, s16, s8
	s_addc_u32 s21, s17, s9
	s_add_u32 s22, s18, s8
	s_addc_u32 s23, s19, s9
	s_or_b32 s6, s22, s20
	s_and_b32 s6, s6, 31
	s_cmp_lg_u32 s6, 0
	s_cselect_b64 s[26:27], -1, 0
	s_lshl_b64 s[2:3], s[2:3], 16
	s_sub_u32 s10, s24, s2
	s_subb_u32 s11, s25, s3
	s_and_b32 s6, s24, 3
	s_or_b64 s[2:3], s[4:5], s[6:7]
	s_cmp_lg_u64 s[2:3], 0
	s_cselect_b64 s[2:3], -1, 0
	s_or_b64 s[2:3], s[26:27], s[2:3]
	s_andn2_b64 vcc, exec, s[2:3]
	s_mov_b64 s[2:3], -1
	s_cbranch_vccz .LBB6_5
; %bb.1:
	v_mov_b64_e32 v[4:5], 0x10000
	v_cmp_lt_i64_e32 vcc, s[10:11], v[4:5]
	s_and_b64 s[2:3], vcc, exec
	v_mov_b32_e32 v3, 0
	s_cselect_b32 s25, s11, 0
	s_cselect_b32 s24, s10, 0x10000
	v_lshlrev_b32_e32 v2, 2, v0
	v_cmp_gt_i64_e32 vcc, s[24:25], v[2:3]
	s_and_saveexec_b64 s[26:27], vcc
	s_cbranch_execz .LBB6_4
; %bb.2:
	s_load_dword s2, s[0:1], 0xc5c
	v_mov_b32_e32 v1, v3
	s_mov_b32 s29, 0
	v_lshlrev_b32_e32 v2, 5, v0
	s_mov_b64 s[30:31], 0
	s_waitcnt lgkmcnt(0)
	s_and_b32 s28, s2, 0xffff
	s_lshl_b32 s33, s28, 5
	v_mov_b64_e32 v[4:5], v[0:1]
.LBB6_3:                                ; =>This Inner Loop Header: Depth=1
	v_lshl_add_u64 v[30:31], s[12:13], 0, v[2:3]
	v_lshl_add_u64 v[32:33], s[20:21], 0, v[2:3]
	;; [unrolled: 1-line block ×3, first 2 shown]
	global_load_dwordx4 v[6:9], v[30:31], off
	global_load_dwordx4 v[10:13], v[32:33], off
	;; [unrolled: 1-line block ×3, first 2 shown]
	global_load_dwordx4 v[18:21], v[30:31], off offset:16
	global_load_dwordx4 v[22:25], v[32:33], off offset:16
	;; [unrolled: 1-line block ×3, first 2 shown]
	s_add_u32 s22, s22, s33
	s_addc_u32 s23, s23, 0
	s_add_u32 s12, s12, s33
	v_lshl_add_u64 v[4:5], v[4:5], 0, s[28:29]
	s_addc_u32 s13, s13, 0
	v_lshlrev_b64 v[32:33], 2, v[4:5]
	s_add_u32 s20, s20, s33
	v_cmp_le_i64_e32 vcc, s[24:25], v[32:33]
	s_addc_u32 s21, s21, 0
	s_or_b64 s[30:31], vcc, s[30:31]
	s_waitcnt vmcnt(4)
	v_add_f64 v[32:33], v[10:11], -v[6:7]
	s_waitcnt vmcnt(3)
	v_add_f64 v[34:35], -v[14:15], 1.0
	v_add_f64 v[36:37], v[12:13], -v[8:9]
	v_add_f64 v[38:39], -v[16:17], 1.0
	s_waitcnt vmcnt(1)
	v_add_f64 v[40:41], v[22:23], -v[18:19]
	s_waitcnt vmcnt(0)
	v_add_f64 v[42:43], -v[26:27], 1.0
	v_add_f64 v[44:45], v[24:25], -v[20:21]
	v_add_f64 v[46:47], -v[28:29], 1.0
	v_fmac_f64_e32 v[6:7], v[32:33], v[14:15]
	v_fma_f64 v[10:11], -v[32:33], v[34:35], v[10:11]
	v_fmac_f64_e32 v[8:9], v[36:37], v[16:17]
	v_fma_f64 v[12:13], -v[36:37], v[38:39], v[12:13]
	v_cmp_lt_f64_e64 vcc, |v[16:17]|, 0.5
	v_cmp_lt_f64_e64 s[6:7], |v[14:15]|, 0.5
	v_fmac_f64_e32 v[18:19], v[40:41], v[26:27]
	v_fma_f64 v[16:17], -v[40:41], v[42:43], v[22:23]
	v_cmp_lt_f64_e64 s[2:3], |v[26:27]|, 0.5
	v_fmac_f64_e32 v[20:21], v[44:45], v[28:29]
	v_fma_f64 v[22:23], -v[44:45], v[46:47], v[24:25]
	v_cmp_lt_f64_e64 s[4:5], |v[28:29]|, 0.5
	v_cndmask_b32_e64 v7, v11, v7, s[6:7]
	v_cndmask_b32_e64 v6, v10, v6, s[6:7]
	v_cndmask_b32_e32 v9, v13, v9, vcc
	v_cndmask_b32_e32 v8, v12, v8, vcc
	v_cndmask_b32_e64 v11, v17, v19, s[2:3]
	v_cndmask_b32_e64 v10, v16, v18, s[2:3]
	;; [unrolled: 1-line block ×4, first 2 shown]
	global_store_dwordx4 v[30:31], v[6:9], off
	global_store_dwordx4 v[30:31], v[10:13], off offset:16
	s_andn2_b64 exec, exec, s[30:31]
	s_cbranch_execnz .LBB6_3
.LBB6_4:
	s_or_b64 exec, exec, s[26:27]
	s_mov_b64 s[2:3], 0
.LBB6_5:
	s_andn2_b64 vcc, exec, s[2:3]
	s_cbranch_vccnz .LBB6_33
; %bb.6:
	v_cmp_lt_i64_e64 s[2:3], s[10:11], 1
	s_and_b64 vcc, exec, s[2:3]
	s_cbranch_vccnz .LBB6_33
; %bb.7:
	s_load_dword s2, s[0:1], 0xc5c
	v_mov_b64_e32 v[2:3], 0x10000
	v_cmp_lt_i64_e32 vcc, s[10:11], v[2:3]
	s_and_b64 s[0:1], vcc, exec
	s_mov_b32 s3, 0
	s_cselect_b32 s7, s11, 0
	s_cselect_b32 s6, s10, 0x10000
	s_waitcnt lgkmcnt(0)
	s_and_b32 s2, s2, 0xffff
	v_cmp_lt_u64_e32 vcc, s[10:11], v[2:3]
	v_mov_b32_e32 v1, 0
	s_and_b64 s[0:1], vcc, exec
	s_mul_i32 s4, s2, 3
	s_mov_b32 s5, s3
	s_cselect_b32 s11, s11, 0
	s_cselect_b32 s10, s10, 0x10000
	v_lshlrev_b32_e32 v16, 3, v0
	v_mov_b32_e32 v17, v1
	v_lshl_add_u64 v[14:15], s[4:5], 0, v[0:1]
	s_lshl_b32 s4, s2, 4
	v_lshl_add_u64 v[24:25], v[0:1], 0, s[2:3]
	s_lshl_b32 s0, s2, 1
	s_mov_b32 s1, s3
	v_mad_u64_u32 v[12:13], s[22:23], s2, 24, v[16:17]
	v_lshl_add_u64 v[20:21], s[4:5], 0, v[16:17]
	v_lshlrev_b32_e32 v30, 3, v24
	v_mov_b32_e32 v31, v1
	s_lshl_b32 s20, s2, 2
	v_lshl_add_u64 v[2:3], s[14:15], 0, v[16:17]
	s_lshl_b32 s12, s2, 5
	s_mov_b32 s13, s3
	v_lshl_add_u64 v[4:5], s[16:17], 0, v[16:17]
	v_lshl_add_u64 v[6:7], s[18:19], 0, v[16:17]
	;; [unrolled: 1-line block ×12, first 2 shown]
	s_mov_b64 s[14:15], 0
	s_branch .LBB6_9
.LBB6_8:                                ;   in Loop: Header=BB6_9 Depth=1
	s_or_b64 exec, exec, s[0:1]
	s_add_u32 s14, s14, s20
	s_addc_u32 s15, s15, 0
	s_waitcnt vmcnt(0)
	v_mov_b64_e32 v[32:33], s[6:7]
	v_cmp_ge_i64_e32 vcc, s[14:15], v[32:33]
	v_lshl_add_u64 v[2:3], v[2:3], 0, s[12:13]
	v_lshl_add_u64 v[4:5], v[4:5], 0, s[12:13]
	;; [unrolled: 1-line block ×12, first 2 shown]
	s_cbranch_vccnz .LBB6_33
.LBB6_9:                                ; =>This Inner Loop Header: Depth=1
	v_lshl_add_u64 v[32:33], v[0:1], 0, s[14:15]
	v_cmp_gt_u64_e32 vcc, s[10:11], v[32:33]
	v_mov_b64_e32 v[32:33], 0
	v_mov_b64_e32 v[36:37], 0
	;; [unrolled: 1-line block ×3, first 2 shown]
	s_and_saveexec_b64 s[0:1], vcc
	s_cbranch_execz .LBB6_11
; %bb.10:                               ;   in Loop: Header=BB6_9 Depth=1
	v_lshl_add_u64 v[40:41], v[2:3], 0, s[8:9]
	v_lshl_add_u64 v[38:39], v[4:5], 0, s[8:9]
	global_load_dwordx2 v[34:35], v[40:41], off
	global_load_dwordx2 v[36:37], v[38:39], off
.LBB6_11:                               ;   in Loop: Header=BB6_9 Depth=1
	s_or_b64 exec, exec, s[0:1]
	s_and_saveexec_b64 s[0:1], vcc
	s_cbranch_execz .LBB6_13
; %bb.12:                               ;   in Loop: Header=BB6_9 Depth=1
	v_lshl_add_u64 v[32:33], v[6:7], 0, s[8:9]
	global_load_dwordx2 v[32:33], v[32:33], off
.LBB6_13:                               ;   in Loop: Header=BB6_9 Depth=1
	s_or_b64 exec, exec, s[0:1]
	v_lshl_add_u64 v[38:39], v[24:25], 0, s[14:15]
	v_cmp_gt_u64_e64 s[0:1], s[10:11], v[38:39]
	v_mov_b64_e32 v[38:39], 0
	v_mov_b64_e32 v[42:43], 0
	;; [unrolled: 1-line block ×3, first 2 shown]
	s_and_saveexec_b64 s[2:3], s[0:1]
	s_cbranch_execz .LBB6_15
; %bb.14:                               ;   in Loop: Header=BB6_9 Depth=1
	v_lshl_add_u64 v[46:47], v[26:27], 0, s[8:9]
	v_lshl_add_u64 v[44:45], v[28:29], 0, s[8:9]
	global_load_dwordx2 v[40:41], v[46:47], off
	global_load_dwordx2 v[42:43], v[44:45], off
.LBB6_15:                               ;   in Loop: Header=BB6_9 Depth=1
	s_or_b64 exec, exec, s[2:3]
	s_and_saveexec_b64 s[2:3], s[0:1]
	s_cbranch_execz .LBB6_17
; %bb.16:                               ;   in Loop: Header=BB6_9 Depth=1
	v_lshl_add_u64 v[38:39], v[30:31], 0, s[8:9]
	global_load_dwordx2 v[38:39], v[38:39], off
.LBB6_17:                               ;   in Loop: Header=BB6_9 Depth=1
	s_or_b64 exec, exec, s[2:3]
	v_lshl_add_u64 v[44:45], v[22:23], 0, s[14:15]
	v_cmp_gt_u64_e64 s[2:3], s[10:11], v[44:45]
	v_mov_b64_e32 v[44:45], 0
	v_mov_b64_e32 v[48:49], 0
	;; [unrolled: 1-line block ×3, first 2 shown]
	s_and_saveexec_b64 s[4:5], s[2:3]
	s_cbranch_execz .LBB6_19
; %bb.18:                               ;   in Loop: Header=BB6_9 Depth=1
	v_lshl_add_u64 v[52:53], v[16:17], 0, s[8:9]
	v_lshl_add_u64 v[50:51], v[18:19], 0, s[8:9]
	global_load_dwordx2 v[46:47], v[52:53], off
	global_load_dwordx2 v[48:49], v[50:51], off
.LBB6_19:                               ;   in Loop: Header=BB6_9 Depth=1
	s_or_b64 exec, exec, s[4:5]
	s_and_saveexec_b64 s[4:5], s[2:3]
	s_cbranch_execz .LBB6_21
; %bb.20:                               ;   in Loop: Header=BB6_9 Depth=1
	v_lshl_add_u64 v[44:45], v[20:21], 0, s[8:9]
	global_load_dwordx2 v[44:45], v[44:45], off
.LBB6_21:                               ;   in Loop: Header=BB6_9 Depth=1
	s_or_b64 exec, exec, s[4:5]
	v_lshl_add_u64 v[50:51], v[14:15], 0, s[14:15]
	v_cmp_gt_u64_e64 s[4:5], s[10:11], v[50:51]
	v_mov_b64_e32 v[50:51], 0
	v_mov_b64_e32 v[54:55], 0
	;; [unrolled: 1-line block ×3, first 2 shown]
	s_and_saveexec_b64 s[16:17], s[4:5]
	s_cbranch_execnz .LBB6_27
; %bb.22:                               ;   in Loop: Header=BB6_9 Depth=1
	s_or_b64 exec, exec, s[16:17]
	s_and_saveexec_b64 s[16:17], s[4:5]
	s_cbranch_execnz .LBB6_28
.LBB6_23:                               ;   in Loop: Header=BB6_9 Depth=1
	s_or_b64 exec, exec, s[16:17]
	s_and_saveexec_b64 s[16:17], vcc
	s_cbranch_execnz .LBB6_29
.LBB6_24:                               ;   in Loop: Header=BB6_9 Depth=1
	s_or_b64 exec, exec, s[16:17]
	s_and_saveexec_b64 s[16:17], s[0:1]
	s_cbranch_execnz .LBB6_30
.LBB6_25:                               ;   in Loop: Header=BB6_9 Depth=1
	s_or_b64 exec, exec, s[16:17]
	s_and_saveexec_b64 s[0:1], s[2:3]
	s_cbranch_execnz .LBB6_31
.LBB6_26:                               ;   in Loop: Header=BB6_9 Depth=1
	s_or_b64 exec, exec, s[0:1]
	s_and_saveexec_b64 s[0:1], s[4:5]
	s_cbranch_execz .LBB6_8
	s_branch .LBB6_32
.LBB6_27:                               ;   in Loop: Header=BB6_9 Depth=1
	v_lshl_add_u64 v[58:59], v[8:9], 0, s[8:9]
	v_lshl_add_u64 v[56:57], v[10:11], 0, s[8:9]
	global_load_dwordx2 v[52:53], v[58:59], off
	global_load_dwordx2 v[54:55], v[56:57], off
	s_or_b64 exec, exec, s[16:17]
	s_and_saveexec_b64 s[16:17], s[4:5]
	s_cbranch_execz .LBB6_23
.LBB6_28:                               ;   in Loop: Header=BB6_9 Depth=1
	v_lshl_add_u64 v[50:51], v[12:13], 0, s[8:9]
	global_load_dwordx2 v[50:51], v[50:51], off
	s_or_b64 exec, exec, s[16:17]
	s_and_saveexec_b64 s[16:17], vcc
	s_cbranch_execz .LBB6_24
.LBB6_29:                               ;   in Loop: Header=BB6_9 Depth=1
	s_waitcnt vmcnt(0)
	v_add_f64 v[58:59], v[36:37], -v[34:35]
	v_add_f64 v[60:61], -v[32:33], 1.0
	v_fmac_f64_e32 v[34:35], v[58:59], v[32:33]
	v_fma_f64 v[36:37], -v[58:59], v[60:61], v[36:37]
	v_cmp_lt_f64_e64 vcc, |v[32:33]|, 0.5
	v_lshl_add_u64 v[56:57], v[2:3], 0, s[8:9]
	s_nop 0
	v_cndmask_b32_e32 v33, v37, v35, vcc
	v_cndmask_b32_e32 v32, v36, v34, vcc
	global_store_dwordx2 v[56:57], v[32:33], off
	s_or_b64 exec, exec, s[16:17]
	s_and_saveexec_b64 s[16:17], s[0:1]
	s_cbranch_execz .LBB6_25
.LBB6_30:                               ;   in Loop: Header=BB6_9 Depth=1
	s_waitcnt vmcnt(0)
	v_add_f64 v[32:33], v[42:43], -v[40:41]
	v_add_f64 v[34:35], -v[38:39], 1.0
	v_fmac_f64_e32 v[40:41], v[32:33], v[38:39]
	v_fma_f64 v[32:33], -v[32:33], v[34:35], v[42:43]
	v_cmp_lt_f64_e64 vcc, |v[38:39]|, 0.5
	v_lshl_add_u64 v[34:35], v[26:27], 0, s[8:9]
	s_nop 0
	v_cndmask_b32_e32 v33, v33, v41, vcc
	v_cndmask_b32_e32 v32, v32, v40, vcc
	global_store_dwordx2 v[34:35], v[32:33], off
	s_or_b64 exec, exec, s[16:17]
	s_and_saveexec_b64 s[0:1], s[2:3]
	s_cbranch_execz .LBB6_26
.LBB6_31:                               ;   in Loop: Header=BB6_9 Depth=1
	s_waitcnt vmcnt(0)
	v_add_f64 v[32:33], v[48:49], -v[46:47]
	v_add_f64 v[34:35], -v[44:45], 1.0
	v_fmac_f64_e32 v[46:47], v[32:33], v[44:45]
	v_fma_f64 v[32:33], -v[32:33], v[34:35], v[48:49]
	v_cmp_lt_f64_e64 vcc, |v[44:45]|, 0.5
	v_lshl_add_u64 v[34:35], v[16:17], 0, s[8:9]
	s_nop 0
	v_cndmask_b32_e32 v33, v33, v47, vcc
	v_cndmask_b32_e32 v32, v32, v46, vcc
	global_store_dwordx2 v[34:35], v[32:33], off
	s_or_b64 exec, exec, s[0:1]
	s_and_saveexec_b64 s[0:1], s[4:5]
	s_cbranch_execz .LBB6_8
.LBB6_32:                               ;   in Loop: Header=BB6_9 Depth=1
	s_waitcnt vmcnt(0)
	v_add_f64 v[32:33], v[54:55], -v[52:53]
	v_add_f64 v[34:35], -v[50:51], 1.0
	v_fmac_f64_e32 v[52:53], v[32:33], v[50:51]
	v_fma_f64 v[32:33], -v[32:33], v[34:35], v[54:55]
	v_cmp_lt_f64_e64 vcc, |v[50:51]|, 0.5
	v_lshl_add_u64 v[34:35], v[8:9], 0, s[8:9]
	s_nop 0
	v_cndmask_b32_e32 v33, v33, v53, vcc
	v_cndmask_b32_e32 v32, v32, v52, vcc
	global_store_dwordx2 v[34:35], v[32:33], off
	s_branch .LBB6_8
.LBB6_33:
	s_endpgm
	.section	.rodata,"a",@progbits
	.p2align	6, 0x0
	.amdhsa_kernel _ZN2at6native12_GLOBAL__N_125multi_tensor_apply_kernelINS1_18TensorListMetadataILi3EEENS1_20TernaryOpListFunctorIdLi3ELi3ELi0EEEJNS0_11LerpFunctorIdEEEEEvT_T0_DpT1_
		.amdhsa_group_segment_fixed_size 0
		.amdhsa_private_segment_fixed_size 0
		.amdhsa_kernarg_size 3408
		.amdhsa_user_sgpr_count 2
		.amdhsa_user_sgpr_dispatch_ptr 0
		.amdhsa_user_sgpr_queue_ptr 0
		.amdhsa_user_sgpr_kernarg_segment_ptr 1
		.amdhsa_user_sgpr_dispatch_id 0
		.amdhsa_user_sgpr_kernarg_preload_length 0
		.amdhsa_user_sgpr_kernarg_preload_offset 0
		.amdhsa_user_sgpr_private_segment_size 0
		.amdhsa_uses_dynamic_stack 0
		.amdhsa_enable_private_segment 0
		.amdhsa_system_sgpr_workgroup_id_x 1
		.amdhsa_system_sgpr_workgroup_id_y 0
		.amdhsa_system_sgpr_workgroup_id_z 0
		.amdhsa_system_sgpr_workgroup_info 0
		.amdhsa_system_vgpr_workitem_id 0
		.amdhsa_next_free_vgpr 62
		.amdhsa_next_free_sgpr 34
		.amdhsa_accum_offset 64
		.amdhsa_reserve_vcc 1
		.amdhsa_float_round_mode_32 0
		.amdhsa_float_round_mode_16_64 0
		.amdhsa_float_denorm_mode_32 3
		.amdhsa_float_denorm_mode_16_64 3
		.amdhsa_dx10_clamp 1
		.amdhsa_ieee_mode 1
		.amdhsa_fp16_overflow 0
		.amdhsa_tg_split 0
		.amdhsa_exception_fp_ieee_invalid_op 0
		.amdhsa_exception_fp_denorm_src 0
		.amdhsa_exception_fp_ieee_div_zero 0
		.amdhsa_exception_fp_ieee_overflow 0
		.amdhsa_exception_fp_ieee_underflow 0
		.amdhsa_exception_fp_ieee_inexact 0
		.amdhsa_exception_int_div_zero 0
	.end_amdhsa_kernel
	.section	.text._ZN2at6native12_GLOBAL__N_125multi_tensor_apply_kernelINS1_18TensorListMetadataILi3EEENS1_20TernaryOpListFunctorIdLi3ELi3ELi0EEEJNS0_11LerpFunctorIdEEEEEvT_T0_DpT1_,"axG",@progbits,_ZN2at6native12_GLOBAL__N_125multi_tensor_apply_kernelINS1_18TensorListMetadataILi3EEENS1_20TernaryOpListFunctorIdLi3ELi3ELi0EEEJNS0_11LerpFunctorIdEEEEEvT_T0_DpT1_,comdat
.Lfunc_end6:
	.size	_ZN2at6native12_GLOBAL__N_125multi_tensor_apply_kernelINS1_18TensorListMetadataILi3EEENS1_20TernaryOpListFunctorIdLi3ELi3ELi0EEEJNS0_11LerpFunctorIdEEEEEvT_T0_DpT1_, .Lfunc_end6-_ZN2at6native12_GLOBAL__N_125multi_tensor_apply_kernelINS1_18TensorListMetadataILi3EEENS1_20TernaryOpListFunctorIdLi3ELi3ELi0EEEJNS0_11LerpFunctorIdEEEEEvT_T0_DpT1_
                                        ; -- End function
	.set _ZN2at6native12_GLOBAL__N_125multi_tensor_apply_kernelINS1_18TensorListMetadataILi3EEENS1_20TernaryOpListFunctorIdLi3ELi3ELi0EEEJNS0_11LerpFunctorIdEEEEEvT_T0_DpT1_.num_vgpr, 62
	.set _ZN2at6native12_GLOBAL__N_125multi_tensor_apply_kernelINS1_18TensorListMetadataILi3EEENS1_20TernaryOpListFunctorIdLi3ELi3ELi0EEEJNS0_11LerpFunctorIdEEEEEvT_T0_DpT1_.num_agpr, 0
	.set _ZN2at6native12_GLOBAL__N_125multi_tensor_apply_kernelINS1_18TensorListMetadataILi3EEENS1_20TernaryOpListFunctorIdLi3ELi3ELi0EEEJNS0_11LerpFunctorIdEEEEEvT_T0_DpT1_.numbered_sgpr, 34
	.set _ZN2at6native12_GLOBAL__N_125multi_tensor_apply_kernelINS1_18TensorListMetadataILi3EEENS1_20TernaryOpListFunctorIdLi3ELi3ELi0EEEJNS0_11LerpFunctorIdEEEEEvT_T0_DpT1_.num_named_barrier, 0
	.set _ZN2at6native12_GLOBAL__N_125multi_tensor_apply_kernelINS1_18TensorListMetadataILi3EEENS1_20TernaryOpListFunctorIdLi3ELi3ELi0EEEJNS0_11LerpFunctorIdEEEEEvT_T0_DpT1_.private_seg_size, 0
	.set _ZN2at6native12_GLOBAL__N_125multi_tensor_apply_kernelINS1_18TensorListMetadataILi3EEENS1_20TernaryOpListFunctorIdLi3ELi3ELi0EEEJNS0_11LerpFunctorIdEEEEEvT_T0_DpT1_.uses_vcc, 1
	.set _ZN2at6native12_GLOBAL__N_125multi_tensor_apply_kernelINS1_18TensorListMetadataILi3EEENS1_20TernaryOpListFunctorIdLi3ELi3ELi0EEEJNS0_11LerpFunctorIdEEEEEvT_T0_DpT1_.uses_flat_scratch, 0
	.set _ZN2at6native12_GLOBAL__N_125multi_tensor_apply_kernelINS1_18TensorListMetadataILi3EEENS1_20TernaryOpListFunctorIdLi3ELi3ELi0EEEJNS0_11LerpFunctorIdEEEEEvT_T0_DpT1_.has_dyn_sized_stack, 0
	.set _ZN2at6native12_GLOBAL__N_125multi_tensor_apply_kernelINS1_18TensorListMetadataILi3EEENS1_20TernaryOpListFunctorIdLi3ELi3ELi0EEEJNS0_11LerpFunctorIdEEEEEvT_T0_DpT1_.has_recursion, 0
	.set _ZN2at6native12_GLOBAL__N_125multi_tensor_apply_kernelINS1_18TensorListMetadataILi3EEENS1_20TernaryOpListFunctorIdLi3ELi3ELi0EEEJNS0_11LerpFunctorIdEEEEEvT_T0_DpT1_.has_indirect_call, 0
	.section	.AMDGPU.csdata,"",@progbits
; Kernel info:
; codeLenInByte = 1860
; TotalNumSgprs: 40
; NumVgprs: 62
; NumAgprs: 0
; TotalNumVgprs: 62
; ScratchSize: 0
; MemoryBound: 0
; FloatMode: 240
; IeeeMode: 1
; LDSByteSize: 0 bytes/workgroup (compile time only)
; SGPRBlocks: 4
; VGPRBlocks: 7
; NumSGPRsForWavesPerEU: 40
; NumVGPRsForWavesPerEU: 62
; AccumOffset: 64
; Occupancy: 8
; WaveLimiterHint : 0
; COMPUTE_PGM_RSRC2:SCRATCH_EN: 0
; COMPUTE_PGM_RSRC2:USER_SGPR: 2
; COMPUTE_PGM_RSRC2:TRAP_HANDLER: 0
; COMPUTE_PGM_RSRC2:TGID_X_EN: 1
; COMPUTE_PGM_RSRC2:TGID_Y_EN: 0
; COMPUTE_PGM_RSRC2:TGID_Z_EN: 0
; COMPUTE_PGM_RSRC2:TIDIG_COMP_CNT: 0
; COMPUTE_PGM_RSRC3_GFX90A:ACCUM_OFFSET: 15
; COMPUTE_PGM_RSRC3_GFX90A:TG_SPLIT: 0
	.section	.text._ZN2at6native12_GLOBAL__N_125multi_tensor_apply_kernelINS1_18TensorListMetadataILi3EEENS1_20TernaryOpListFunctorIfLi3ELi3ELi0EEEJNS0_11LerpFunctorIfEEEEEvT_T0_DpT1_,"axG",@progbits,_ZN2at6native12_GLOBAL__N_125multi_tensor_apply_kernelINS1_18TensorListMetadataILi3EEENS1_20TernaryOpListFunctorIfLi3ELi3ELi0EEEJNS0_11LerpFunctorIfEEEEEvT_T0_DpT1_,comdat
	.globl	_ZN2at6native12_GLOBAL__N_125multi_tensor_apply_kernelINS1_18TensorListMetadataILi3EEENS1_20TernaryOpListFunctorIfLi3ELi3ELi0EEEJNS0_11LerpFunctorIfEEEEEvT_T0_DpT1_ ; -- Begin function _ZN2at6native12_GLOBAL__N_125multi_tensor_apply_kernelINS1_18TensorListMetadataILi3EEENS1_20TernaryOpListFunctorIfLi3ELi3ELi0EEEJNS0_11LerpFunctorIfEEEEEvT_T0_DpT1_
	.p2align	8
	.type	_ZN2at6native12_GLOBAL__N_125multi_tensor_apply_kernelINS1_18TensorListMetadataILi3EEENS1_20TernaryOpListFunctorIfLi3ELi3ELi0EEEJNS0_11LerpFunctorIfEEEEEvT_T0_DpT1_,@function
_ZN2at6native12_GLOBAL__N_125multi_tensor_apply_kernelINS1_18TensorListMetadataILi3EEENS1_20TernaryOpListFunctorIfLi3ELi3ELi0EEEJNS0_11LerpFunctorIfEEEEEvT_T0_DpT1_: ; @_ZN2at6native12_GLOBAL__N_125multi_tensor_apply_kernelINS1_18TensorListMetadataILi3EEENS1_20TernaryOpListFunctorIfLi3ELi3ELi0EEEJNS0_11LerpFunctorIfEEEEEvT_T0_DpT1_
; %bb.0:
	v_mov_b32_e32 v1, s2
	global_load_ubyte v1, v1, s[0:1] offset:1536
	s_add_u32 s4, s0, s2
	s_mul_hi_u32 s7, s2, 3
	s_mul_i32 s2, s2, 3
	s_addc_u32 s8, s1, 0
	s_add_u32 s6, s4, s2
	s_addc_u32 s7, s8, s7
	s_load_dword s6, s[6:7], 0x740
	s_mov_b32 s3, 0
	s_mov_b32 s5, s3
	s_waitcnt lgkmcnt(0)
	s_ashr_i32 s7, s6, 31
	s_lshl_b64 s[8:9], s[6:7], 18
	s_waitcnt vmcnt(0)
	v_readfirstlane_b32 s2, v1
	s_lshl_b32 s2, s2, 3
	s_load_dwordx2 s[12:13], s[0:1], s2 offset:0x480
	s_load_dwordx2 s[14:15], s[0:1], s2 offset:0x0
	;; [unrolled: 1-line block ×4, first 2 shown]
	s_waitcnt lgkmcnt(0)
	s_and_b32 s2, s14, 15
	s_add_u32 s4, s16, s8
	s_or_b32 s4, s18, s4
	s_and_b32 s4, s4, 15
	s_cmp_lg_u32 s4, 0
	s_cselect_b64 s[20:21], -1, 0
	s_lshl_b64 s[6:7], s[6:7], 16
	s_sub_u32 s10, s12, s6
	s_subb_u32 s11, s13, s7
	s_and_b32 s4, s12, 3
	s_or_b64 s[2:3], s[2:3], s[4:5]
	s_cmp_lg_u64 s[2:3], 0
	s_cselect_b64 s[2:3], -1, 0
	s_or_b64 s[2:3], s[20:21], s[2:3]
	s_andn2_b64 vcc, exec, s[2:3]
	s_mov_b64 s[2:3], -1
	s_cbranch_vccz .LBB7_5
; %bb.1:
	v_mov_b64_e32 v[4:5], 0x10000
	v_cmp_lt_i64_e32 vcc, s[10:11], v[4:5]
	s_and_b64 s[2:3], vcc, exec
	v_mov_b32_e32 v3, 0
	s_cselect_b32 s13, s11, 0
	s_cselect_b32 s12, s10, 0x10000
	v_lshlrev_b32_e32 v2, 2, v0
	v_cmp_gt_i64_e32 vcc, s[12:13], v[2:3]
	s_and_saveexec_b64 s[20:21], vcc
	s_cbranch_execz .LBB7_4
; %bb.2:
	s_load_dword s2, s[0:1], 0xc5c
	v_mov_b32_e32 v1, v3
	s_mov_b32 s23, 0
	v_lshlrev_b32_e32 v2, 4, v0
	v_lshl_add_u64 v[2:3], s[8:9], 0, v[2:3]
	s_waitcnt lgkmcnt(0)
	s_and_b32 s22, s2, 0xffff
	s_lshl_b32 s24, s22, 4
	s_add_u32 s26, s14, 8
	s_addc_u32 s27, s15, 0
	s_add_u32 s28, s16, 8
	s_mov_b32 s25, s23
	s_addc_u32 s29, s17, 0
	s_mov_b64 s[30:31], 0
	v_mov_b64_e32 v[4:5], v[0:1]
.LBB7_3:                                ; =>This Inner Loop Header: Depth=1
	v_lshl_add_u64 v[18:19], s[26:27], 0, v[2:3]
	v_lshl_add_u64 v[20:21], s[28:29], 0, v[2:3]
	;; [unrolled: 1-line block ×3, first 2 shown]
	global_load_dwordx4 v[6:9], v[18:19], off offset:-8
	global_load_dwordx4 v[10:13], v[20:21], off offset:-8
	global_load_dwordx4 v[14:17], v[22:23], off
	v_lshl_add_u64 v[4:5], v[4:5], 0, s[22:23]
	v_lshlrev_b64 v[20:21], 2, v[4:5]
	v_cmp_le_i64_e32 vcc, s[12:13], v[20:21]
	s_or_b64 s[30:31], vcc, s[30:31]
	v_lshl_add_u64 v[2:3], v[2:3], 0, s[24:25]
	s_waitcnt vmcnt(1)
	v_pk_add_f32 v[20:21], v[10:11], v[6:7] neg_lo:[0,1] neg_hi:[0,1]
	s_waitcnt vmcnt(0)
	v_pk_add_f32 v[22:23], v[14:15], 1.0 op_sel_hi:[1,0] neg_lo:[1,0] neg_hi:[1,0]
	v_pk_add_f32 v[24:25], v[12:13], v[8:9] neg_lo:[0,1] neg_hi:[0,1]
	v_pk_add_f32 v[26:27], v[16:17], 1.0 op_sel_hi:[1,0] neg_lo:[1,0] neg_hi:[1,0]
	v_pk_fma_f32 v[6:7], v[20:21], v[14:15], v[6:7]
	v_pk_fma_f32 v[10:11], v[20:21], v[22:23], v[10:11] neg_lo:[1,0,0] neg_hi:[1,0,0]
	v_cmp_lt_f32_e64 vcc, |v14|, 0.5
	v_pk_fma_f32 v[8:9], v[24:25], v[16:17], v[8:9]
	v_pk_fma_f32 v[12:13], v[24:25], v[26:27], v[12:13] neg_lo:[1,0,0] neg_hi:[1,0,0]
	v_cmp_lt_f32_e64 s[2:3], |v16|, 0.5
	v_cmp_lt_f32_e64 s[4:5], |v17|, 0.5
	;; [unrolled: 1-line block ×3, first 2 shown]
	v_cndmask_b32_e32 v6, v10, v6, vcc
	v_cndmask_b32_e64 v9, v13, v9, s[4:5]
	v_cndmask_b32_e64 v7, v11, v7, s[6:7]
	;; [unrolled: 1-line block ×3, first 2 shown]
	global_store_dwordx4 v[18:19], v[6:9], off offset:-8
	s_andn2_b64 exec, exec, s[30:31]
	s_cbranch_execnz .LBB7_3
.LBB7_4:
	s_or_b64 exec, exec, s[20:21]
	s_mov_b64 s[2:3], 0
.LBB7_5:
	s_andn2_b64 vcc, exec, s[2:3]
	s_cbranch_vccnz .LBB7_33
; %bb.6:
	v_cmp_lt_i64_e64 s[2:3], s[10:11], 1
	s_and_b64 vcc, exec, s[2:3]
	s_cbranch_vccnz .LBB7_33
; %bb.7:
	s_load_dword s2, s[0:1], 0xc5c
	v_mov_b64_e32 v[2:3], 0x10000
	v_cmp_lt_i64_e32 vcc, s[10:11], v[2:3]
	s_and_b64 s[0:1], vcc, exec
	s_mov_b32 s3, 0
	s_cselect_b32 s7, s11, 0
	s_cselect_b32 s6, s10, 0x10000
	s_waitcnt lgkmcnt(0)
	s_and_b32 s2, s2, 0xffff
	v_cmp_lt_u64_e32 vcc, s[10:11], v[2:3]
	v_mov_b32_e32 v1, 0
	s_and_b64 s[0:1], vcc, exec
	s_mul_i32 s4, s2, 3
	s_mov_b32 s5, s3
	s_cselect_b32 s11, s11, 0
	s_cselect_b32 s10, s10, 0x10000
	v_lshlrev_b32_e32 v16, 2, v0
	v_mov_b32_e32 v17, v1
	v_lshl_add_u64 v[14:15], s[4:5], 0, v[0:1]
	s_lshl_b32 s4, s2, 3
	v_lshl_add_u64 v[24:25], v[0:1], 0, s[2:3]
	s_lshl_b32 s0, s2, 1
	s_mov_b32 s1, s3
	v_mad_u64_u32 v[12:13], s[22:23], s2, 12, v[16:17]
	v_lshl_add_u64 v[20:21], s[4:5], 0, v[16:17]
	v_lshlrev_b32_e32 v30, 2, v24
	v_mov_b32_e32 v31, v1
	s_lshl_b32 s20, s2, 2
	v_lshl_add_u64 v[2:3], s[14:15], 0, v[16:17]
	s_lshl_b32 s12, s2, 4
	s_mov_b32 s13, s3
	v_lshl_add_u64 v[4:5], s[16:17], 0, v[16:17]
	v_lshl_add_u64 v[6:7], s[18:19], 0, v[16:17]
	;; [unrolled: 1-line block ×12, first 2 shown]
	s_mov_b64 s[14:15], 0
	v_mov_b32_e32 v33, 1.0
	s_branch .LBB7_9
.LBB7_8:                                ;   in Loop: Header=BB7_9 Depth=1
	s_or_b64 exec, exec, s[0:1]
	s_add_u32 s14, s14, s20
	s_addc_u32 s15, s15, 0
	s_waitcnt vmcnt(0)
	v_mov_b64_e32 v[34:35], s[6:7]
	v_cmp_ge_i64_e32 vcc, s[14:15], v[34:35]
	v_lshl_add_u64 v[2:3], v[2:3], 0, s[12:13]
	v_lshl_add_u64 v[4:5], v[4:5], 0, s[12:13]
	;; [unrolled: 1-line block ×12, first 2 shown]
	s_cbranch_vccnz .LBB7_33
.LBB7_9:                                ; =>This Inner Loop Header: Depth=1
	v_lshl_add_u64 v[34:35], v[0:1], 0, s[14:15]
	v_cmp_gt_u64_e32 vcc, s[10:11], v[34:35]
	v_mov_b32_e32 v32, 0
	v_mov_b32_e32 v34, 0
	s_and_saveexec_b64 s[0:1], vcc
	s_cbranch_execz .LBB7_11
; %bb.10:                               ;   in Loop: Header=BB7_9 Depth=1
	v_lshl_add_u64 v[38:39], v[2:3], 0, s[8:9]
	v_lshl_add_u64 v[36:37], v[4:5], 0, s[8:9]
	global_load_dword v34, v[38:39], off
	global_load_dword v32, v[36:37], off
.LBB7_11:                               ;   in Loop: Header=BB7_9 Depth=1
	s_or_b64 exec, exec, s[0:1]
	v_mov_b32_e32 v36, 0
	v_mov_b32_e32 v35, 0
	s_and_saveexec_b64 s[0:1], vcc
	s_cbranch_execz .LBB7_13
; %bb.12:                               ;   in Loop: Header=BB7_9 Depth=1
	v_lshl_add_u64 v[38:39], v[6:7], 0, s[8:9]
	global_load_dword v35, v[38:39], off
.LBB7_13:                               ;   in Loop: Header=BB7_9 Depth=1
	s_or_b64 exec, exec, s[0:1]
	v_lshl_add_u64 v[38:39], v[24:25], 0, s[14:15]
	v_cmp_gt_u64_e64 s[0:1], s[10:11], v[38:39]
	v_mov_b32_e32 v37, 0
	s_and_saveexec_b64 s[2:3], s[0:1]
	s_cbranch_execz .LBB7_15
; %bb.14:                               ;   in Loop: Header=BB7_9 Depth=1
	v_lshl_add_u64 v[40:41], v[26:27], 0, s[8:9]
	v_lshl_add_u64 v[38:39], v[28:29], 0, s[8:9]
	global_load_dword v37, v[40:41], off
	global_load_dword v36, v[38:39], off
.LBB7_15:                               ;   in Loop: Header=BB7_9 Depth=1
	s_or_b64 exec, exec, s[2:3]
	v_mov_b32_e32 v38, 0
	v_mov_b32_e32 v40, 0
	s_and_saveexec_b64 s[2:3], s[0:1]
	s_cbranch_execz .LBB7_17
; %bb.16:                               ;   in Loop: Header=BB7_9 Depth=1
	v_lshl_add_u64 v[40:41], v[30:31], 0, s[8:9]
	global_load_dword v40, v[40:41], off
.LBB7_17:                               ;   in Loop: Header=BB7_9 Depth=1
	s_or_b64 exec, exec, s[2:3]
	v_lshl_add_u64 v[42:43], v[22:23], 0, s[14:15]
	v_cmp_gt_u64_e64 s[2:3], s[10:11], v[42:43]
	v_mov_b32_e32 v39, 0
	s_and_saveexec_b64 s[4:5], s[2:3]
	s_cbranch_execz .LBB7_19
; %bb.18:                               ;   in Loop: Header=BB7_9 Depth=1
	v_lshl_add_u64 v[44:45], v[16:17], 0, s[8:9]
	v_lshl_add_u64 v[42:43], v[18:19], 0, s[8:9]
	global_load_dword v39, v[44:45], off
	global_load_dword v38, v[42:43], off
.LBB7_19:                               ;   in Loop: Header=BB7_9 Depth=1
	s_or_b64 exec, exec, s[4:5]
	v_mov_b32_e32 v41, 0
	v_mov_b32_e32 v43, 0
	s_and_saveexec_b64 s[4:5], s[2:3]
	s_cbranch_execz .LBB7_21
; %bb.20:                               ;   in Loop: Header=BB7_9 Depth=1
	v_lshl_add_u64 v[42:43], v[20:21], 0, s[8:9]
	global_load_dword v43, v[42:43], off
.LBB7_21:                               ;   in Loop: Header=BB7_9 Depth=1
	s_or_b64 exec, exec, s[4:5]
	v_lshl_add_u64 v[44:45], v[14:15], 0, s[14:15]
	v_cmp_gt_u64_e64 s[4:5], s[10:11], v[44:45]
	v_mov_b32_e32 v42, 0
	s_and_saveexec_b64 s[16:17], s[4:5]
	s_cbranch_execnz .LBB7_27
; %bb.22:                               ;   in Loop: Header=BB7_9 Depth=1
	s_or_b64 exec, exec, s[16:17]
	v_mov_b32_e32 v44, 0
	s_and_saveexec_b64 s[16:17], s[4:5]
	s_cbranch_execnz .LBB7_28
.LBB7_23:                               ;   in Loop: Header=BB7_9 Depth=1
	s_or_b64 exec, exec, s[16:17]
	s_and_saveexec_b64 s[16:17], vcc
	s_cbranch_execnz .LBB7_29
.LBB7_24:                               ;   in Loop: Header=BB7_9 Depth=1
	s_or_b64 exec, exec, s[16:17]
	s_and_saveexec_b64 s[16:17], s[0:1]
	s_cbranch_execnz .LBB7_30
.LBB7_25:                               ;   in Loop: Header=BB7_9 Depth=1
	s_or_b64 exec, exec, s[16:17]
	s_and_saveexec_b64 s[0:1], s[2:3]
	s_cbranch_execnz .LBB7_31
.LBB7_26:                               ;   in Loop: Header=BB7_9 Depth=1
	s_or_b64 exec, exec, s[0:1]
	s_and_saveexec_b64 s[0:1], s[4:5]
	s_cbranch_execz .LBB7_8
	s_branch .LBB7_32
.LBB7_27:                               ;   in Loop: Header=BB7_9 Depth=1
	v_lshl_add_u64 v[46:47], v[8:9], 0, s[8:9]
	v_lshl_add_u64 v[44:45], v[10:11], 0, s[8:9]
	global_load_dword v42, v[46:47], off
	global_load_dword v41, v[44:45], off
	s_or_b64 exec, exec, s[16:17]
	v_mov_b32_e32 v44, 0
	s_and_saveexec_b64 s[16:17], s[4:5]
	s_cbranch_execz .LBB7_23
.LBB7_28:                               ;   in Loop: Header=BB7_9 Depth=1
	v_lshl_add_u64 v[44:45], v[12:13], 0, s[8:9]
	global_load_dword v44, v[44:45], off
	s_or_b64 exec, exec, s[16:17]
	s_and_saveexec_b64 s[16:17], vcc
	s_cbranch_execz .LBB7_24
.LBB7_29:                               ;   in Loop: Header=BB7_9 Depth=1
	s_waitcnt vmcnt(0)
	v_pk_add_f32 v[48:49], v[32:33], v[34:35] neg_lo:[0,1] neg_hi:[0,1]
	v_cmp_lt_f32_e64 vcc, |v35|, 0.5
	v_fmac_f32_e32 v34, v48, v35
	v_fma_f32 v32, -v48, v49, v32
	v_lshl_add_u64 v[46:47], v[2:3], 0, s[8:9]
	v_cndmask_b32_e32 v32, v32, v34, vcc
	global_store_dword v[46:47], v32, off
	s_or_b64 exec, exec, s[16:17]
	s_and_saveexec_b64 s[16:17], s[0:1]
	s_cbranch_execz .LBB7_25
.LBB7_30:                               ;   in Loop: Header=BB7_9 Depth=1
	s_waitcnt vmcnt(0)
	v_sub_f32_e32 v32, v36, v37
	v_sub_f32_e32 v34, 1.0, v40
	v_fmac_f32_e32 v37, v32, v40
	v_fma_f32 v32, -v32, v34, v36
	v_cmp_lt_f32_e64 vcc, |v40|, 0.5
	v_lshl_add_u64 v[34:35], v[26:27], 0, s[8:9]
	s_nop 0
	v_cndmask_b32_e32 v32, v32, v37, vcc
	global_store_dword v[34:35], v32, off
	s_or_b64 exec, exec, s[16:17]
	s_and_saveexec_b64 s[0:1], s[2:3]
	s_cbranch_execz .LBB7_26
.LBB7_31:                               ;   in Loop: Header=BB7_9 Depth=1
	s_waitcnt vmcnt(0)
	v_sub_f32_e32 v32, v38, v39
	v_sub_f32_e32 v34, 1.0, v43
	v_fmac_f32_e32 v39, v32, v43
	v_fma_f32 v32, -v32, v34, v38
	v_cmp_lt_f32_e64 vcc, |v43|, 0.5
	v_lshl_add_u64 v[34:35], v[16:17], 0, s[8:9]
	s_nop 0
	v_cndmask_b32_e32 v32, v32, v39, vcc
	global_store_dword v[34:35], v32, off
	s_or_b64 exec, exec, s[0:1]
	s_and_saveexec_b64 s[0:1], s[4:5]
	s_cbranch_execz .LBB7_8
.LBB7_32:                               ;   in Loop: Header=BB7_9 Depth=1
	s_waitcnt vmcnt(0)
	v_sub_f32_e32 v32, v41, v42
	v_sub_f32_e32 v34, 1.0, v44
	v_fmac_f32_e32 v42, v32, v44
	v_fma_f32 v32, -v32, v34, v41
	v_cmp_lt_f32_e64 vcc, |v44|, 0.5
	v_lshl_add_u64 v[34:35], v[8:9], 0, s[8:9]
	s_nop 0
	v_cndmask_b32_e32 v32, v32, v42, vcc
	global_store_dword v[34:35], v32, off
	s_branch .LBB7_8
.LBB7_33:
	s_endpgm
	.section	.rodata,"a",@progbits
	.p2align	6, 0x0
	.amdhsa_kernel _ZN2at6native12_GLOBAL__N_125multi_tensor_apply_kernelINS1_18TensorListMetadataILi3EEENS1_20TernaryOpListFunctorIfLi3ELi3ELi0EEEJNS0_11LerpFunctorIfEEEEEvT_T0_DpT1_
		.amdhsa_group_segment_fixed_size 0
		.amdhsa_private_segment_fixed_size 0
		.amdhsa_kernarg_size 3408
		.amdhsa_user_sgpr_count 2
		.amdhsa_user_sgpr_dispatch_ptr 0
		.amdhsa_user_sgpr_queue_ptr 0
		.amdhsa_user_sgpr_kernarg_segment_ptr 1
		.amdhsa_user_sgpr_dispatch_id 0
		.amdhsa_user_sgpr_kernarg_preload_length 0
		.amdhsa_user_sgpr_kernarg_preload_offset 0
		.amdhsa_user_sgpr_private_segment_size 0
		.amdhsa_uses_dynamic_stack 0
		.amdhsa_enable_private_segment 0
		.amdhsa_system_sgpr_workgroup_id_x 1
		.amdhsa_system_sgpr_workgroup_id_y 0
		.amdhsa_system_sgpr_workgroup_id_z 0
		.amdhsa_system_sgpr_workgroup_info 0
		.amdhsa_system_vgpr_workitem_id 0
		.amdhsa_next_free_vgpr 50
		.amdhsa_next_free_sgpr 32
		.amdhsa_accum_offset 52
		.amdhsa_reserve_vcc 1
		.amdhsa_float_round_mode_32 0
		.amdhsa_float_round_mode_16_64 0
		.amdhsa_float_denorm_mode_32 3
		.amdhsa_float_denorm_mode_16_64 3
		.amdhsa_dx10_clamp 1
		.amdhsa_ieee_mode 1
		.amdhsa_fp16_overflow 0
		.amdhsa_tg_split 0
		.amdhsa_exception_fp_ieee_invalid_op 0
		.amdhsa_exception_fp_denorm_src 0
		.amdhsa_exception_fp_ieee_div_zero 0
		.amdhsa_exception_fp_ieee_overflow 0
		.amdhsa_exception_fp_ieee_underflow 0
		.amdhsa_exception_fp_ieee_inexact 0
		.amdhsa_exception_int_div_zero 0
	.end_amdhsa_kernel
	.section	.text._ZN2at6native12_GLOBAL__N_125multi_tensor_apply_kernelINS1_18TensorListMetadataILi3EEENS1_20TernaryOpListFunctorIfLi3ELi3ELi0EEEJNS0_11LerpFunctorIfEEEEEvT_T0_DpT1_,"axG",@progbits,_ZN2at6native12_GLOBAL__N_125multi_tensor_apply_kernelINS1_18TensorListMetadataILi3EEENS1_20TernaryOpListFunctorIfLi3ELi3ELi0EEEJNS0_11LerpFunctorIfEEEEEvT_T0_DpT1_,comdat
.Lfunc_end7:
	.size	_ZN2at6native12_GLOBAL__N_125multi_tensor_apply_kernelINS1_18TensorListMetadataILi3EEENS1_20TernaryOpListFunctorIfLi3ELi3ELi0EEEJNS0_11LerpFunctorIfEEEEEvT_T0_DpT1_, .Lfunc_end7-_ZN2at6native12_GLOBAL__N_125multi_tensor_apply_kernelINS1_18TensorListMetadataILi3EEENS1_20TernaryOpListFunctorIfLi3ELi3ELi0EEEJNS0_11LerpFunctorIfEEEEEvT_T0_DpT1_
                                        ; -- End function
	.set _ZN2at6native12_GLOBAL__N_125multi_tensor_apply_kernelINS1_18TensorListMetadataILi3EEENS1_20TernaryOpListFunctorIfLi3ELi3ELi0EEEJNS0_11LerpFunctorIfEEEEEvT_T0_DpT1_.num_vgpr, 50
	.set _ZN2at6native12_GLOBAL__N_125multi_tensor_apply_kernelINS1_18TensorListMetadataILi3EEENS1_20TernaryOpListFunctorIfLi3ELi3ELi0EEEJNS0_11LerpFunctorIfEEEEEvT_T0_DpT1_.num_agpr, 0
	.set _ZN2at6native12_GLOBAL__N_125multi_tensor_apply_kernelINS1_18TensorListMetadataILi3EEENS1_20TernaryOpListFunctorIfLi3ELi3ELi0EEEJNS0_11LerpFunctorIfEEEEEvT_T0_DpT1_.numbered_sgpr, 32
	.set _ZN2at6native12_GLOBAL__N_125multi_tensor_apply_kernelINS1_18TensorListMetadataILi3EEENS1_20TernaryOpListFunctorIfLi3ELi3ELi0EEEJNS0_11LerpFunctorIfEEEEEvT_T0_DpT1_.num_named_barrier, 0
	.set _ZN2at6native12_GLOBAL__N_125multi_tensor_apply_kernelINS1_18TensorListMetadataILi3EEENS1_20TernaryOpListFunctorIfLi3ELi3ELi0EEEJNS0_11LerpFunctorIfEEEEEvT_T0_DpT1_.private_seg_size, 0
	.set _ZN2at6native12_GLOBAL__N_125multi_tensor_apply_kernelINS1_18TensorListMetadataILi3EEENS1_20TernaryOpListFunctorIfLi3ELi3ELi0EEEJNS0_11LerpFunctorIfEEEEEvT_T0_DpT1_.uses_vcc, 1
	.set _ZN2at6native12_GLOBAL__N_125multi_tensor_apply_kernelINS1_18TensorListMetadataILi3EEENS1_20TernaryOpListFunctorIfLi3ELi3ELi0EEEJNS0_11LerpFunctorIfEEEEEvT_T0_DpT1_.uses_flat_scratch, 0
	.set _ZN2at6native12_GLOBAL__N_125multi_tensor_apply_kernelINS1_18TensorListMetadataILi3EEENS1_20TernaryOpListFunctorIfLi3ELi3ELi0EEEJNS0_11LerpFunctorIfEEEEEvT_T0_DpT1_.has_dyn_sized_stack, 0
	.set _ZN2at6native12_GLOBAL__N_125multi_tensor_apply_kernelINS1_18TensorListMetadataILi3EEENS1_20TernaryOpListFunctorIfLi3ELi3ELi0EEEJNS0_11LerpFunctorIfEEEEEvT_T0_DpT1_.has_recursion, 0
	.set _ZN2at6native12_GLOBAL__N_125multi_tensor_apply_kernelINS1_18TensorListMetadataILi3EEENS1_20TernaryOpListFunctorIfLi3ELi3ELi0EEEJNS0_11LerpFunctorIfEEEEEvT_T0_DpT1_.has_indirect_call, 0
	.section	.AMDGPU.csdata,"",@progbits
; Kernel info:
; codeLenInByte = 1692
; TotalNumSgprs: 38
; NumVgprs: 50
; NumAgprs: 0
; TotalNumVgprs: 50
; ScratchSize: 0
; MemoryBound: 0
; FloatMode: 240
; IeeeMode: 1
; LDSByteSize: 0 bytes/workgroup (compile time only)
; SGPRBlocks: 4
; VGPRBlocks: 6
; NumSGPRsForWavesPerEU: 38
; NumVGPRsForWavesPerEU: 50
; AccumOffset: 52
; Occupancy: 8
; WaveLimiterHint : 0
; COMPUTE_PGM_RSRC2:SCRATCH_EN: 0
; COMPUTE_PGM_RSRC2:USER_SGPR: 2
; COMPUTE_PGM_RSRC2:TRAP_HANDLER: 0
; COMPUTE_PGM_RSRC2:TGID_X_EN: 1
; COMPUTE_PGM_RSRC2:TGID_Y_EN: 0
; COMPUTE_PGM_RSRC2:TGID_Z_EN: 0
; COMPUTE_PGM_RSRC2:TIDIG_COMP_CNT: 0
; COMPUTE_PGM_RSRC3_GFX90A:ACCUM_OFFSET: 12
; COMPUTE_PGM_RSRC3_GFX90A:TG_SPLIT: 0
	.section	.text._ZN2at6native12_GLOBAL__N_125multi_tensor_apply_kernelINS1_18TensorListMetadataILi3EEENS1_20TernaryOpListFunctorIN3c107complexIdEELi3ELi3ELi0EEEJNS0_11LerpFunctorIS8_EEEEEvT_T0_DpT1_,"axG",@progbits,_ZN2at6native12_GLOBAL__N_125multi_tensor_apply_kernelINS1_18TensorListMetadataILi3EEENS1_20TernaryOpListFunctorIN3c107complexIdEELi3ELi3ELi0EEEJNS0_11LerpFunctorIS8_EEEEEvT_T0_DpT1_,comdat
	.globl	_ZN2at6native12_GLOBAL__N_125multi_tensor_apply_kernelINS1_18TensorListMetadataILi3EEENS1_20TernaryOpListFunctorIN3c107complexIdEELi3ELi3ELi0EEEJNS0_11LerpFunctorIS8_EEEEEvT_T0_DpT1_ ; -- Begin function _ZN2at6native12_GLOBAL__N_125multi_tensor_apply_kernelINS1_18TensorListMetadataILi3EEENS1_20TernaryOpListFunctorIN3c107complexIdEELi3ELi3ELi0EEEJNS0_11LerpFunctorIS8_EEEEEvT_T0_DpT1_
	.p2align	8
	.type	_ZN2at6native12_GLOBAL__N_125multi_tensor_apply_kernelINS1_18TensorListMetadataILi3EEENS1_20TernaryOpListFunctorIN3c107complexIdEELi3ELi3ELi0EEEJNS0_11LerpFunctorIS8_EEEEEvT_T0_DpT1_,@function
_ZN2at6native12_GLOBAL__N_125multi_tensor_apply_kernelINS1_18TensorListMetadataILi3EEENS1_20TernaryOpListFunctorIN3c107complexIdEELi3ELi3ELi0EEEJNS0_11LerpFunctorIS8_EEEEEvT_T0_DpT1_: ; @_ZN2at6native12_GLOBAL__N_125multi_tensor_apply_kernelINS1_18TensorListMetadataILi3EEENS1_20TernaryOpListFunctorIN3c107complexIdEELi3ELi3ELi0EEEJNS0_11LerpFunctorIS8_EEEEEvT_T0_DpT1_
; %bb.0:
	v_mov_b32_e32 v1, s2
	global_load_ubyte v1, v1, s[0:1] offset:1536
	s_add_u32 s3, s0, s2
	s_mul_hi_u32 s4, s2, 3
	s_mul_i32 s2, s2, 3
	s_addc_u32 s5, s1, 0
	s_add_u32 s2, s3, s2
	s_addc_u32 s3, s5, s4
	s_load_dword s2, s[2:3], 0x740
	s_mov_b32 s5, 0
	s_mov_b32 s7, s5
	s_waitcnt lgkmcnt(0)
	s_ashr_i32 s3, s2, 31
	s_lshl_b64 s[12:13], s[2:3], 20
	s_waitcnt vmcnt(0)
	v_readfirstlane_b32 s4, v1
	s_lshl_b32 s4, s4, 3
	s_load_dwordx2 s[8:9], s[0:1], s4 offset:0x0
	s_load_dwordx2 s[10:11], s[0:1], s4 offset:0x180
	;; [unrolled: 1-line block ×4, first 2 shown]
	s_waitcnt lgkmcnt(0)
	s_add_u32 s8, s8, s12
	s_addc_u32 s9, s9, s13
	s_add_u32 s10, s10, s12
	s_addc_u32 s11, s11, s13
	;; [unrolled: 2-line block ×3, first 2 shown]
	s_or_b32 s6, s12, s10
	s_lshl_b64 s[2:3], s[2:3], 16
	s_and_b32 s4, s8, 63
	s_and_b32 s6, s6, 63
	s_cmp_lg_u32 s6, 0
	s_cselect_b64 s[16:17], -1, 0
	s_sub_u32 s2, s14, s2
	s_subb_u32 s3, s15, s3
	s_and_b32 s6, s14, 3
	s_or_b64 s[4:5], s[4:5], s[6:7]
	s_cmp_lg_u64 s[4:5], 0
	s_cselect_b64 s[4:5], -1, 0
	s_or_b64 s[4:5], s[16:17], s[4:5]
	s_andn2_b64 vcc, exec, s[4:5]
	s_mov_b64 s[4:5], -1
	s_cbranch_vccz .LBB8_21
; %bb.1:
	v_mov_b64_e32 v[2:3], 0x10000
	v_cmp_lt_i64_e32 vcc, s[2:3], v[2:3]
	s_and_b64 s[4:5], vcc, exec
	v_mov_b32_e32 v55, 0
	s_cselect_b32 s5, s3, 0
	s_cselect_b32 s4, s2, 0x10000
	v_lshlrev_b32_e32 v54, 2, v0
	v_cmp_gt_i64_e32 vcc, s[4:5], v[54:55]
	s_and_saveexec_b64 s[6:7], vcc
	s_cbranch_execz .LBB8_20
; %bb.2:
	s_load_dword s14, s[0:1], 0xc5c
	v_mov_b32_e32 v1, v55
	s_mov_b32 s18, 0
	s_mov_b32 s15, 0
	v_lshlrev_b32_e32 v54, 6, v0
	s_waitcnt lgkmcnt(0)
	s_and_b32 s14, s14, 0xffff
	s_mov_b64 s[16:17], 0
	s_lshl_b32 s28, s14, 6
	s_mov_b32 s19, 0x3fd00000
	s_mov_b64 s[20:21], s[10:11]
	s_mov_b64 s[22:23], s[8:9]
	;; [unrolled: 1-line block ×3, first 2 shown]
	v_mov_b64_e32 v[56:57], v[0:1]
	s_branch .LBB8_4
.LBB8_3:                                ;   in Loop: Header=BB8_4 Depth=1
	s_or_b64 exec, exec, s[26:27]
	s_add_u32 s24, s24, s28
	s_addc_u32 s25, s25, 0
	s_add_u32 s22, s22, s28
	v_lshl_add_u64 v[56:57], v[56:57], 0, s[14:15]
	s_addc_u32 s23, s23, 0
	v_lshlrev_b64 v[2:3], 2, v[56:57]
	s_add_u32 s20, s20, s28
	s_addc_u32 s21, s21, 0
	v_cmp_le_i64_e32 vcc, s[4:5], v[2:3]
	s_or_b64 s[16:17], vcc, s[16:17]
	global_store_dwordx4 v[58:59], v[10:13], off
	global_store_dwordx4 v[58:59], v[26:29], off offset:16
	global_store_dwordx4 v[58:59], v[34:37], off offset:32
	;; [unrolled: 1-line block ×3, first 2 shown]
	s_andn2_b64 exec, exec, s[16:17]
	s_cbranch_execz .LBB8_20
.LBB8_4:                                ; =>This Inner Loop Header: Depth=1
	v_lshl_add_u64 v[58:59], s[22:23], 0, v[54:55]
	global_load_dwordx4 v[2:5], v[58:59], off offset:48
	global_load_dwordx4 v[18:21], v[58:59], off offset:32
	;; [unrolled: 1-line block ×3, first 2 shown]
	global_load_dwordx4 v[26:29], v[58:59], off
	v_lshl_add_u64 v[12:13], s[24:25], 0, v[54:55]
	v_lshl_add_u64 v[10:11], s[20:21], 0, v[54:55]
	global_load_dwordx4 v[38:41], v[12:13], off offset:16
	global_load_dwordx4 v[46:49], v[12:13], off
	global_load_dwordx4 v[42:45], v[10:11], off offset:16
	global_load_dwordx4 v[50:53], v[10:11], off
	global_load_dwordx4 v[14:17], v[10:11], off offset:48
	global_load_dwordx4 v[30:33], v[10:11], off offset:32
	;; [unrolled: 1-line block ×4, first 2 shown]
	s_waitcnt vmcnt(6)
	v_mul_f64 v[10:11], v[48:49], v[48:49]
	v_fmac_f64_e32 v[10:11], v[46:47], v[46:47]
	v_cmp_ngt_f64_e32 vcc, s[18:19], v[10:11]
	s_waitcnt vmcnt(4)
	v_add_f64 v[62:63], v[50:51], -v[26:27]
	v_add_f64 v[60:61], v[52:53], -v[28:29]
                                        ; implicit-def: $vgpr12_vgpr13
	s_and_saveexec_b64 s[26:27], vcc
	s_xor_b64 s[26:27], exec, s[26:27]
; %bb.5:                                ;   in Loop: Header=BB8_4 Depth=1
	v_add_f64 v[12:13], -v[48:49], 0
	v_add_f64 v[10:11], -v[46:47], 1.0
	v_mul_f64 v[26:27], v[60:61], v[12:13]
	v_mul_f64 v[12:13], v[62:63], v[12:13]
	v_fma_f64 v[26:27], v[62:63], v[10:11], -v[26:27]
	v_fmac_f64_e32 v[12:13], v[60:61], v[10:11]
	v_add_f64 v[10:11], v[50:51], -v[26:27]
	v_add_f64 v[12:13], v[52:53], -v[12:13]
                                        ; implicit-def: $vgpr60_vgpr61
                                        ; implicit-def: $vgpr48_vgpr49
                                        ; implicit-def: $vgpr62_vgpr63
                                        ; implicit-def: $vgpr26_vgpr27
; %bb.6:                                ;   in Loop: Header=BB8_4 Depth=1
	s_andn2_saveexec_b64 s[26:27], s[26:27]
; %bb.7:                                ;   in Loop: Header=BB8_4 Depth=1
	v_mul_f64 v[10:11], v[60:61], v[48:49]
	v_mul_f64 v[12:13], v[62:63], v[48:49]
	v_fma_f64 v[10:11], v[62:63], v[46:47], -v[10:11]
	v_fmac_f64_e32 v[12:13], v[60:61], v[46:47]
	v_add_f64 v[10:11], v[26:27], v[10:11]
	v_add_f64 v[12:13], v[28:29], v[12:13]
; %bb.8:                                ;   in Loop: Header=BB8_4 Depth=1
	s_or_b64 exec, exec, s[26:27]
	v_mul_f64 v[26:27], v[40:41], v[40:41]
	v_fmac_f64_e32 v[26:27], v[38:39], v[38:39]
	v_cmp_ngt_f64_e32 vcc, s[18:19], v[26:27]
	v_add_f64 v[48:49], v[42:43], -v[34:35]
	v_add_f64 v[46:47], v[44:45], -v[36:37]
                                        ; implicit-def: $vgpr28_vgpr29
	s_and_saveexec_b64 s[26:27], vcc
	s_xor_b64 s[26:27], exec, s[26:27]
; %bb.9:                                ;   in Loop: Header=BB8_4 Depth=1
	v_add_f64 v[28:29], -v[40:41], 0
	v_add_f64 v[26:27], -v[38:39], 1.0
	v_mul_f64 v[34:35], v[46:47], v[28:29]
	v_mul_f64 v[28:29], v[48:49], v[28:29]
	v_fma_f64 v[34:35], v[48:49], v[26:27], -v[34:35]
	v_fmac_f64_e32 v[28:29], v[46:47], v[26:27]
	v_add_f64 v[26:27], v[42:43], -v[34:35]
	v_add_f64 v[28:29], v[44:45], -v[28:29]
                                        ; implicit-def: $vgpr46_vgpr47
                                        ; implicit-def: $vgpr40_vgpr41
                                        ; implicit-def: $vgpr48_vgpr49
                                        ; implicit-def: $vgpr34_vgpr35
; %bb.10:                               ;   in Loop: Header=BB8_4 Depth=1
	s_andn2_saveexec_b64 s[26:27], s[26:27]
; %bb.11:                               ;   in Loop: Header=BB8_4 Depth=1
	v_mul_f64 v[26:27], v[46:47], v[40:41]
	v_mul_f64 v[28:29], v[48:49], v[40:41]
	v_fma_f64 v[26:27], v[48:49], v[38:39], -v[26:27]
	v_fmac_f64_e32 v[28:29], v[46:47], v[38:39]
	v_add_f64 v[26:27], v[34:35], v[26:27]
	v_add_f64 v[28:29], v[36:37], v[28:29]
; %bb.12:                               ;   in Loop: Header=BB8_4 Depth=1
	s_or_b64 exec, exec, s[26:27]
	s_waitcnt vmcnt(0)
	v_mul_f64 v[34:35], v[24:25], v[24:25]
	v_fmac_f64_e32 v[34:35], v[22:23], v[22:23]
	v_cmp_ngt_f64_e32 vcc, s[18:19], v[34:35]
	v_add_f64 v[40:41], v[30:31], -v[18:19]
	v_add_f64 v[38:39], v[32:33], -v[20:21]
                                        ; implicit-def: $vgpr36_vgpr37
	s_and_saveexec_b64 s[26:27], vcc
	s_xor_b64 s[26:27], exec, s[26:27]
; %bb.13:                               ;   in Loop: Header=BB8_4 Depth=1
	v_add_f64 v[20:21], -v[24:25], 0
	v_add_f64 v[18:19], -v[22:23], 1.0
	v_mul_f64 v[22:23], v[38:39], v[20:21]
	v_mul_f64 v[20:21], v[40:41], v[20:21]
	v_fma_f64 v[22:23], v[40:41], v[18:19], -v[22:23]
	v_fmac_f64_e32 v[20:21], v[38:39], v[18:19]
	v_add_f64 v[34:35], v[30:31], -v[22:23]
	v_add_f64 v[36:37], v[32:33], -v[20:21]
                                        ; implicit-def: $vgpr38_vgpr39
                                        ; implicit-def: $vgpr24_vgpr25
                                        ; implicit-def: $vgpr40_vgpr41
                                        ; implicit-def: $vgpr18_vgpr19
; %bb.14:                               ;   in Loop: Header=BB8_4 Depth=1
	s_andn2_saveexec_b64 s[26:27], s[26:27]
; %bb.15:                               ;   in Loop: Header=BB8_4 Depth=1
	v_mul_f64 v[30:31], v[38:39], v[24:25]
	v_mul_f64 v[24:25], v[40:41], v[24:25]
	v_fma_f64 v[30:31], v[40:41], v[22:23], -v[30:31]
	v_fmac_f64_e32 v[24:25], v[38:39], v[22:23]
	v_add_f64 v[34:35], v[18:19], v[30:31]
	v_add_f64 v[36:37], v[20:21], v[24:25]
; %bb.16:                               ;   in Loop: Header=BB8_4 Depth=1
	s_or_b64 exec, exec, s[26:27]
	v_mul_f64 v[18:19], v[8:9], v[8:9]
	v_fmac_f64_e32 v[18:19], v[6:7], v[6:7]
	v_cmp_ngt_f64_e32 vcc, s[18:19], v[18:19]
	v_add_f64 v[24:25], v[14:15], -v[2:3]
	v_add_f64 v[22:23], v[16:17], -v[4:5]
                                        ; implicit-def: $vgpr20_vgpr21
	s_and_saveexec_b64 s[26:27], vcc
	s_xor_b64 s[26:27], exec, s[26:27]
; %bb.17:                               ;   in Loop: Header=BB8_4 Depth=1
	v_add_f64 v[4:5], -v[8:9], 0
	v_add_f64 v[2:3], -v[6:7], 1.0
	v_mul_f64 v[6:7], v[22:23], v[4:5]
	v_mul_f64 v[4:5], v[24:25], v[4:5]
	v_fma_f64 v[6:7], v[24:25], v[2:3], -v[6:7]
	v_fmac_f64_e32 v[4:5], v[22:23], v[2:3]
	v_add_f64 v[18:19], v[14:15], -v[6:7]
	v_add_f64 v[20:21], v[16:17], -v[4:5]
                                        ; implicit-def: $vgpr22_vgpr23
                                        ; implicit-def: $vgpr8_vgpr9
                                        ; implicit-def: $vgpr24_vgpr25
                                        ; implicit-def: $vgpr2_vgpr3
; %bb.18:                               ;   in Loop: Header=BB8_4 Depth=1
	s_andn2_saveexec_b64 s[26:27], s[26:27]
	s_cbranch_execz .LBB8_3
; %bb.19:                               ;   in Loop: Header=BB8_4 Depth=1
	v_mul_f64 v[14:15], v[22:23], v[8:9]
	v_mul_f64 v[8:9], v[24:25], v[8:9]
	v_fma_f64 v[14:15], v[24:25], v[6:7], -v[14:15]
	v_fmac_f64_e32 v[8:9], v[22:23], v[6:7]
	v_add_f64 v[18:19], v[2:3], v[14:15]
	v_add_f64 v[20:21], v[4:5], v[8:9]
	s_branch .LBB8_3
.LBB8_20:
	s_or_b64 exec, exec, s[6:7]
	s_mov_b64 s[4:5], 0
.LBB8_21:
	s_andn2_b64 vcc, exec, s[4:5]
	s_cbranch_vccnz .LBB8_65
; %bb.22:
	v_cmp_lt_i64_e64 s[4:5], s[2:3], 1
	s_and_b64 vcc, exec, s[4:5]
	s_cbranch_vccnz .LBB8_65
; %bb.23:
	s_load_dword s4, s[0:1], 0xc5c
	v_mov_b64_e32 v[2:3], 0x10000
	v_cmp_lt_i64_e32 vcc, s[2:3], v[2:3]
	s_and_b64 s[0:1], vcc, exec
	s_cselect_b32 s17, s3, 0
	s_cselect_b32 s16, s2, 0x10000
	s_waitcnt lgkmcnt(0)
	s_and_b32 s14, s4, 0xffff
	v_cmp_lt_u64_e32 vcc, s[2:3], v[2:3]
	s_mov_b32 s15, 0
	s_and_b64 s[0:1], vcc, exec
	s_mov_b32 s26, 0
	v_mov_b32_e32 v1, 0
	s_cselect_b32 s19, s3, 0
	s_cselect_b32 s18, s2, 0x10000
	s_lshl_b32 s20, s14, 1
	s_mov_b32 s21, s15
	s_mul_i32 s22, s14, 3
	s_mov_b32 s23, s15
	s_lshl_b32 s28, s14, 2
	s_mov_b64 s[24:25], 0
	s_mov_b32 s27, 0x3fd00000
	s_branch .LBB8_25
.LBB8_24:                               ;   in Loop: Header=BB8_25 Depth=1
	s_or_b64 exec, exec, s[0:1]
	s_add_u32 s24, s24, s28
	s_addc_u32 s25, s25, 0
	v_mov_b64_e32 v[2:3], s[16:17]
	v_cmp_ge_i64_e32 vcc, s[24:25], v[2:3]
	s_cbranch_vccnz .LBB8_65
.LBB8_25:                               ; =>This Inner Loop Header: Depth=1
	v_lshl_add_u64 v[54:55], s[24:25], 0, v[0:1]
	v_cmp_gt_u64_e32 vcc, s[18:19], v[54:55]
	v_mov_b64_e32 v[24:25], 0
	v_mov_b64_e32 v[48:49], 0
	;; [unrolled: 1-line block ×5, first 2 shown]
	s_and_saveexec_b64 s[0:1], vcc
	s_cbranch_execz .LBB8_27
; %bb.26:                               ;   in Loop: Header=BB8_25 Depth=1
	v_lshlrev_b64 v[2:3], 4, v[54:55]
	v_lshl_add_u64 v[4:5], s[10:11], 0, v[2:3]
	v_lshl_add_u64 v[2:3], s[8:9], 0, v[2:3]
	global_load_dwordx4 v[30:33], v[2:3], off
	global_load_dwordx4 v[46:49], v[4:5], off
.LBB8_27:                               ;   in Loop: Header=BB8_25 Depth=1
	s_or_b64 exec, exec, s[0:1]
	v_mov_b64_e32 v[22:23], 0
	s_and_saveexec_b64 s[0:1], vcc
	s_cbranch_execz .LBB8_29
; %bb.28:                               ;   in Loop: Header=BB8_25 Depth=1
	v_lshl_add_u64 v[2:3], v[54:55], 4, s[12:13]
	global_load_dwordx4 v[22:25], v[2:3], off
.LBB8_29:                               ;   in Loop: Header=BB8_25 Depth=1
	s_or_b64 exec, exec, s[0:1]
	v_lshl_add_u64 v[56:57], v[54:55], 0, s[14:15]
	v_cmp_gt_u64_e64 s[0:1], s[18:19], v[56:57]
	v_mov_b64_e32 v[12:13], 0
	v_mov_b64_e32 v[44:45], 0
	v_mov_b64_e32 v[42:43], 0
	v_mov_b64_e32 v[28:29], 0
	v_mov_b64_e32 v[26:27], 0
	s_and_saveexec_b64 s[2:3], s[0:1]
	s_cbranch_execz .LBB8_31
; %bb.30:                               ;   in Loop: Header=BB8_25 Depth=1
	v_lshlrev_b64 v[2:3], 4, v[56:57]
	v_lshl_add_u64 v[4:5], s[10:11], 0, v[2:3]
	v_lshl_add_u64 v[2:3], s[8:9], 0, v[2:3]
	global_load_dwordx4 v[26:29], v[2:3], off
	global_load_dwordx4 v[42:45], v[4:5], off
.LBB8_31:                               ;   in Loop: Header=BB8_25 Depth=1
	s_or_b64 exec, exec, s[2:3]
	v_mov_b64_e32 v[10:11], 0
	s_and_saveexec_b64 s[2:3], s[0:1]
	s_cbranch_execz .LBB8_33
; %bb.32:                               ;   in Loop: Header=BB8_25 Depth=1
	v_lshl_add_u64 v[2:3], v[56:57], 4, s[12:13]
	global_load_dwordx4 v[10:13], v[2:3], off
.LBB8_33:                               ;   in Loop: Header=BB8_25 Depth=1
	s_or_b64 exec, exec, s[2:3]
	v_lshl_add_u64 v[58:59], v[54:55], 0, s[20:21]
	v_cmp_gt_u64_e64 s[2:3], s[18:19], v[58:59]
	v_mov_b64_e32 v[8:9], 0
	v_mov_b64_e32 v[40:41], 0
	v_mov_b64_e32 v[38:39], 0
	v_mov_b64_e32 v[20:21], 0
	v_mov_b64_e32 v[18:19], 0
	s_and_saveexec_b64 s[4:5], s[2:3]
	s_cbranch_execz .LBB8_35
; %bb.34:                               ;   in Loop: Header=BB8_25 Depth=1
	v_lshlrev_b64 v[2:3], 4, v[58:59]
	v_lshl_add_u64 v[4:5], s[10:11], 0, v[2:3]
	v_lshl_add_u64 v[2:3], s[8:9], 0, v[2:3]
	global_load_dwordx4 v[18:21], v[2:3], off
	global_load_dwordx4 v[38:41], v[4:5], off
.LBB8_35:                               ;   in Loop: Header=BB8_25 Depth=1
	s_or_b64 exec, exec, s[4:5]
	v_mov_b64_e32 v[6:7], 0
	s_and_saveexec_b64 s[4:5], s[2:3]
	;; [unrolled: 25-line block ×3, first 2 shown]
	s_cbranch_execz .LBB8_41
; %bb.40:                               ;   in Loop: Header=BB8_25 Depth=1
	v_lshl_add_u64 v[2:3], v[60:61], 4, s[12:13]
	global_load_dwordx4 v[2:5], v[2:3], off
.LBB8_41:                               ;   in Loop: Header=BB8_25 Depth=1
	s_or_b64 exec, exec, s[6:7]
	s_waitcnt vmcnt(0)
	v_mul_f64 v[50:51], v[22:23], v[22:23]
	v_fmac_f64_e32 v[50:51], v[24:25], v[24:25]
	v_cmp_ngt_f64_e64 s[6:7], s[26:27], v[50:51]
	v_add_f64 v[62:63], v[46:47], -v[30:31]
	v_add_f64 v[64:65], v[48:49], -v[32:33]
                                        ; implicit-def: $vgpr52_vgpr53
	s_and_saveexec_b64 s[30:31], s[6:7]
	s_xor_b64 s[6:7], exec, s[30:31]
; %bb.42:                               ;   in Loop: Header=BB8_25 Depth=1
	v_add_f64 v[24:25], -v[24:25], 0
	v_add_f64 v[22:23], -v[22:23], 1.0
	v_mul_f64 v[30:31], v[64:65], v[24:25]
	v_fma_f64 v[30:31], v[62:63], v[22:23], -v[30:31]
	v_mul_f64 v[22:23], v[64:65], v[22:23]
	v_fmac_f64_e32 v[22:23], v[62:63], v[24:25]
	v_add_f64 v[50:51], v[46:47], -v[30:31]
	v_add_f64 v[52:53], v[48:49], -v[22:23]
                                        ; implicit-def: $vgpr64_vgpr65
                                        ; implicit-def: $vgpr24_vgpr25
                                        ; implicit-def: $vgpr62_vgpr63
                                        ; implicit-def: $vgpr30_vgpr31
; %bb.43:                               ;   in Loop: Header=BB8_25 Depth=1
	s_andn2_saveexec_b64 s[6:7], s[6:7]
; %bb.44:                               ;   in Loop: Header=BB8_25 Depth=1
	v_mul_f64 v[46:47], v[64:65], v[24:25]
	v_fma_f64 v[46:47], v[62:63], v[22:23], -v[46:47]
	v_mul_f64 v[22:23], v[64:65], v[22:23]
	v_fmac_f64_e32 v[22:23], v[62:63], v[24:25]
	v_add_f64 v[50:51], v[30:31], v[46:47]
	v_add_f64 v[52:53], v[32:33], v[22:23]
; %bb.45:                               ;   in Loop: Header=BB8_25 Depth=1
	s_or_b64 exec, exec, s[6:7]
	v_mul_f64 v[22:23], v[10:11], v[10:11]
	v_fmac_f64_e32 v[22:23], v[12:13], v[12:13]
	v_cmp_ngt_f64_e64 s[6:7], s[26:27], v[22:23]
	v_add_f64 v[30:31], v[42:43], -v[26:27]
	v_add_f64 v[32:33], v[44:45], -v[28:29]
                                        ; implicit-def: $vgpr24_vgpr25
	s_and_saveexec_b64 s[30:31], s[6:7]
	s_xor_b64 s[6:7], exec, s[30:31]
; %bb.46:                               ;   in Loop: Header=BB8_25 Depth=1
	v_add_f64 v[12:13], -v[12:13], 0
	v_add_f64 v[10:11], -v[10:11], 1.0
	v_mul_f64 v[22:23], v[32:33], v[12:13]
	v_fma_f64 v[22:23], v[30:31], v[10:11], -v[22:23]
	v_mul_f64 v[10:11], v[32:33], v[10:11]
	v_fmac_f64_e32 v[10:11], v[30:31], v[12:13]
	v_add_f64 v[22:23], v[42:43], -v[22:23]
	v_add_f64 v[24:25], v[44:45], -v[10:11]
                                        ; implicit-def: $vgpr32_vgpr33
                                        ; implicit-def: $vgpr12_vgpr13
                                        ; implicit-def: $vgpr30_vgpr31
                                        ; implicit-def: $vgpr26_vgpr27
; %bb.47:                               ;   in Loop: Header=BB8_25 Depth=1
	s_andn2_saveexec_b64 s[6:7], s[6:7]
; %bb.48:                               ;   in Loop: Header=BB8_25 Depth=1
	v_mul_f64 v[22:23], v[32:33], v[12:13]
	v_fma_f64 v[22:23], v[30:31], v[10:11], -v[22:23]
	v_mul_f64 v[10:11], v[32:33], v[10:11]
	v_fmac_f64_e32 v[10:11], v[30:31], v[12:13]
	v_add_f64 v[22:23], v[26:27], v[22:23]
	v_add_f64 v[24:25], v[28:29], v[10:11]
; %bb.49:                               ;   in Loop: Header=BB8_25 Depth=1
	s_or_b64 exec, exec, s[6:7]
	v_mul_f64 v[10:11], v[6:7], v[6:7]
	v_fmac_f64_e32 v[10:11], v[8:9], v[8:9]
	v_cmp_ngt_f64_e64 s[6:7], s[26:27], v[10:11]
	v_add_f64 v[26:27], v[38:39], -v[18:19]
	v_add_f64 v[28:29], v[40:41], -v[20:21]
                                        ; implicit-def: $vgpr12_vgpr13
	s_and_saveexec_b64 s[30:31], s[6:7]
	s_xor_b64 s[6:7], exec, s[30:31]
; %bb.50:                               ;   in Loop: Header=BB8_25 Depth=1
	v_add_f64 v[8:9], -v[8:9], 0
	v_add_f64 v[6:7], -v[6:7], 1.0
	v_mul_f64 v[10:11], v[28:29], v[8:9]
	v_fma_f64 v[10:11], v[26:27], v[6:7], -v[10:11]
	v_mul_f64 v[6:7], v[28:29], v[6:7]
	v_fmac_f64_e32 v[6:7], v[26:27], v[8:9]
	v_add_f64 v[10:11], v[38:39], -v[10:11]
	v_add_f64 v[12:13], v[40:41], -v[6:7]
                                        ; implicit-def: $vgpr28_vgpr29
                                        ; implicit-def: $vgpr8_vgpr9
                                        ; implicit-def: $vgpr26_vgpr27
                                        ; implicit-def: $vgpr18_vgpr19
; %bb.51:                               ;   in Loop: Header=BB8_25 Depth=1
	s_andn2_saveexec_b64 s[6:7], s[6:7]
; %bb.52:                               ;   in Loop: Header=BB8_25 Depth=1
	v_mul_f64 v[10:11], v[28:29], v[8:9]
	v_fma_f64 v[10:11], v[26:27], v[6:7], -v[10:11]
	v_mul_f64 v[6:7], v[28:29], v[6:7]
	v_fmac_f64_e32 v[6:7], v[26:27], v[8:9]
	v_add_f64 v[10:11], v[18:19], v[10:11]
	v_add_f64 v[12:13], v[20:21], v[6:7]
; %bb.53:                               ;   in Loop: Header=BB8_25 Depth=1
	s_or_b64 exec, exec, s[6:7]
	v_mul_f64 v[6:7], v[2:3], v[2:3]
	v_fmac_f64_e32 v[6:7], v[4:5], v[4:5]
	v_cmp_ngt_f64_e64 s[6:7], s[26:27], v[6:7]
	v_add_f64 v[18:19], v[34:35], -v[14:15]
	v_add_f64 v[20:21], v[36:37], -v[16:17]
                                        ; implicit-def: $vgpr8_vgpr9
	s_and_saveexec_b64 s[30:31], s[6:7]
	s_xor_b64 s[6:7], exec, s[30:31]
	s_cbranch_execnz .LBB8_59
; %bb.54:                               ;   in Loop: Header=BB8_25 Depth=1
	s_andn2_saveexec_b64 s[6:7], s[6:7]
	s_cbranch_execnz .LBB8_60
.LBB8_55:                               ;   in Loop: Header=BB8_25 Depth=1
	s_or_b64 exec, exec, s[6:7]
	s_and_saveexec_b64 s[6:7], vcc
	s_xor_b64 s[6:7], exec, s[6:7]
	s_cbranch_execnz .LBB8_61
.LBB8_56:                               ;   in Loop: Header=BB8_25 Depth=1
	s_or_b64 exec, exec, s[6:7]
	s_and_saveexec_b64 s[6:7], s[0:1]
	s_cbranch_execnz .LBB8_62
.LBB8_57:                               ;   in Loop: Header=BB8_25 Depth=1
	s_or_b64 exec, exec, s[6:7]
	s_and_saveexec_b64 s[0:1], s[2:3]
	s_cbranch_execnz .LBB8_63
.LBB8_58:                               ;   in Loop: Header=BB8_25 Depth=1
	s_or_b64 exec, exec, s[0:1]
	s_and_saveexec_b64 s[0:1], s[4:5]
	s_cbranch_execz .LBB8_24
	s_branch .LBB8_64
.LBB8_59:                               ;   in Loop: Header=BB8_25 Depth=1
	v_add_f64 v[4:5], -v[4:5], 0
	v_add_f64 v[2:3], -v[2:3], 1.0
	v_mul_f64 v[6:7], v[20:21], v[4:5]
	v_fma_f64 v[6:7], v[18:19], v[2:3], -v[6:7]
	v_mul_f64 v[2:3], v[20:21], v[2:3]
	v_fmac_f64_e32 v[2:3], v[18:19], v[4:5]
	v_add_f64 v[6:7], v[34:35], -v[6:7]
	v_add_f64 v[8:9], v[36:37], -v[2:3]
                                        ; implicit-def: $vgpr20_vgpr21
                                        ; implicit-def: $vgpr4_vgpr5
                                        ; implicit-def: $vgpr18_vgpr19
                                        ; implicit-def: $vgpr14_vgpr15
	s_andn2_saveexec_b64 s[6:7], s[6:7]
	s_cbranch_execz .LBB8_55
.LBB8_60:                               ;   in Loop: Header=BB8_25 Depth=1
	v_mul_f64 v[6:7], v[20:21], v[4:5]
	v_fma_f64 v[6:7], v[18:19], v[2:3], -v[6:7]
	v_mul_f64 v[2:3], v[20:21], v[2:3]
	v_fmac_f64_e32 v[2:3], v[18:19], v[4:5]
	v_add_f64 v[6:7], v[14:15], v[6:7]
	v_add_f64 v[8:9], v[16:17], v[2:3]
	s_or_b64 exec, exec, s[6:7]
	s_and_saveexec_b64 s[6:7], vcc
	s_xor_b64 s[6:7], exec, s[6:7]
	s_cbranch_execz .LBB8_56
.LBB8_61:                               ;   in Loop: Header=BB8_25 Depth=1
	v_lshl_add_u64 v[2:3], v[54:55], 4, s[8:9]
	global_store_dwordx4 v[2:3], v[50:53], off
	s_or_b64 exec, exec, s[6:7]
	s_and_saveexec_b64 s[6:7], s[0:1]
	s_cbranch_execz .LBB8_57
.LBB8_62:                               ;   in Loop: Header=BB8_25 Depth=1
	v_lshl_add_u64 v[2:3], v[56:57], 4, s[8:9]
	global_store_dwordx4 v[2:3], v[22:25], off
	s_or_b64 exec, exec, s[6:7]
	s_and_saveexec_b64 s[0:1], s[2:3]
	s_cbranch_execz .LBB8_58
.LBB8_63:                               ;   in Loop: Header=BB8_25 Depth=1
	v_lshl_add_u64 v[2:3], v[58:59], 4, s[8:9]
	global_store_dwordx4 v[2:3], v[10:13], off
	s_or_b64 exec, exec, s[0:1]
	s_and_saveexec_b64 s[0:1], s[4:5]
	s_cbranch_execz .LBB8_24
.LBB8_64:                               ;   in Loop: Header=BB8_25 Depth=1
	v_lshl_add_u64 v[2:3], v[60:61], 4, s[8:9]
	global_store_dwordx4 v[2:3], v[6:9], off
	s_branch .LBB8_24
.LBB8_65:
	s_endpgm
	.section	.rodata,"a",@progbits
	.p2align	6, 0x0
	.amdhsa_kernel _ZN2at6native12_GLOBAL__N_125multi_tensor_apply_kernelINS1_18TensorListMetadataILi3EEENS1_20TernaryOpListFunctorIN3c107complexIdEELi3ELi3ELi0EEEJNS0_11LerpFunctorIS8_EEEEEvT_T0_DpT1_
		.amdhsa_group_segment_fixed_size 0
		.amdhsa_private_segment_fixed_size 0
		.amdhsa_kernarg_size 3408
		.amdhsa_user_sgpr_count 2
		.amdhsa_user_sgpr_dispatch_ptr 0
		.amdhsa_user_sgpr_queue_ptr 0
		.amdhsa_user_sgpr_kernarg_segment_ptr 1
		.amdhsa_user_sgpr_dispatch_id 0
		.amdhsa_user_sgpr_kernarg_preload_length 0
		.amdhsa_user_sgpr_kernarg_preload_offset 0
		.amdhsa_user_sgpr_private_segment_size 0
		.amdhsa_uses_dynamic_stack 0
		.amdhsa_enable_private_segment 0
		.amdhsa_system_sgpr_workgroup_id_x 1
		.amdhsa_system_sgpr_workgroup_id_y 0
		.amdhsa_system_sgpr_workgroup_id_z 0
		.amdhsa_system_sgpr_workgroup_info 0
		.amdhsa_system_vgpr_workitem_id 0
		.amdhsa_next_free_vgpr 66
		.amdhsa_next_free_sgpr 32
		.amdhsa_accum_offset 68
		.amdhsa_reserve_vcc 1
		.amdhsa_float_round_mode_32 0
		.amdhsa_float_round_mode_16_64 0
		.amdhsa_float_denorm_mode_32 3
		.amdhsa_float_denorm_mode_16_64 3
		.amdhsa_dx10_clamp 1
		.amdhsa_ieee_mode 1
		.amdhsa_fp16_overflow 0
		.amdhsa_tg_split 0
		.amdhsa_exception_fp_ieee_invalid_op 0
		.amdhsa_exception_fp_denorm_src 0
		.amdhsa_exception_fp_ieee_div_zero 0
		.amdhsa_exception_fp_ieee_overflow 0
		.amdhsa_exception_fp_ieee_underflow 0
		.amdhsa_exception_fp_ieee_inexact 0
		.amdhsa_exception_int_div_zero 0
	.end_amdhsa_kernel
	.section	.text._ZN2at6native12_GLOBAL__N_125multi_tensor_apply_kernelINS1_18TensorListMetadataILi3EEENS1_20TernaryOpListFunctorIN3c107complexIdEELi3ELi3ELi0EEEJNS0_11LerpFunctorIS8_EEEEEvT_T0_DpT1_,"axG",@progbits,_ZN2at6native12_GLOBAL__N_125multi_tensor_apply_kernelINS1_18TensorListMetadataILi3EEENS1_20TernaryOpListFunctorIN3c107complexIdEELi3ELi3ELi0EEEJNS0_11LerpFunctorIS8_EEEEEvT_T0_DpT1_,comdat
.Lfunc_end8:
	.size	_ZN2at6native12_GLOBAL__N_125multi_tensor_apply_kernelINS1_18TensorListMetadataILi3EEENS1_20TernaryOpListFunctorIN3c107complexIdEELi3ELi3ELi0EEEJNS0_11LerpFunctorIS8_EEEEEvT_T0_DpT1_, .Lfunc_end8-_ZN2at6native12_GLOBAL__N_125multi_tensor_apply_kernelINS1_18TensorListMetadataILi3EEENS1_20TernaryOpListFunctorIN3c107complexIdEELi3ELi3ELi0EEEJNS0_11LerpFunctorIS8_EEEEEvT_T0_DpT1_
                                        ; -- End function
	.set _ZN2at6native12_GLOBAL__N_125multi_tensor_apply_kernelINS1_18TensorListMetadataILi3EEENS1_20TernaryOpListFunctorIN3c107complexIdEELi3ELi3ELi0EEEJNS0_11LerpFunctorIS8_EEEEEvT_T0_DpT1_.num_vgpr, 66
	.set _ZN2at6native12_GLOBAL__N_125multi_tensor_apply_kernelINS1_18TensorListMetadataILi3EEENS1_20TernaryOpListFunctorIN3c107complexIdEELi3ELi3ELi0EEEJNS0_11LerpFunctorIS8_EEEEEvT_T0_DpT1_.num_agpr, 0
	.set _ZN2at6native12_GLOBAL__N_125multi_tensor_apply_kernelINS1_18TensorListMetadataILi3EEENS1_20TernaryOpListFunctorIN3c107complexIdEELi3ELi3ELi0EEEJNS0_11LerpFunctorIS8_EEEEEvT_T0_DpT1_.numbered_sgpr, 32
	.set _ZN2at6native12_GLOBAL__N_125multi_tensor_apply_kernelINS1_18TensorListMetadataILi3EEENS1_20TernaryOpListFunctorIN3c107complexIdEELi3ELi3ELi0EEEJNS0_11LerpFunctorIS8_EEEEEvT_T0_DpT1_.num_named_barrier, 0
	.set _ZN2at6native12_GLOBAL__N_125multi_tensor_apply_kernelINS1_18TensorListMetadataILi3EEENS1_20TernaryOpListFunctorIN3c107complexIdEELi3ELi3ELi0EEEJNS0_11LerpFunctorIS8_EEEEEvT_T0_DpT1_.private_seg_size, 0
	.set _ZN2at6native12_GLOBAL__N_125multi_tensor_apply_kernelINS1_18TensorListMetadataILi3EEENS1_20TernaryOpListFunctorIN3c107complexIdEELi3ELi3ELi0EEEJNS0_11LerpFunctorIS8_EEEEEvT_T0_DpT1_.uses_vcc, 1
	.set _ZN2at6native12_GLOBAL__N_125multi_tensor_apply_kernelINS1_18TensorListMetadataILi3EEENS1_20TernaryOpListFunctorIN3c107complexIdEELi3ELi3ELi0EEEJNS0_11LerpFunctorIS8_EEEEEvT_T0_DpT1_.uses_flat_scratch, 0
	.set _ZN2at6native12_GLOBAL__N_125multi_tensor_apply_kernelINS1_18TensorListMetadataILi3EEENS1_20TernaryOpListFunctorIN3c107complexIdEELi3ELi3ELi0EEEJNS0_11LerpFunctorIS8_EEEEEvT_T0_DpT1_.has_dyn_sized_stack, 0
	.set _ZN2at6native12_GLOBAL__N_125multi_tensor_apply_kernelINS1_18TensorListMetadataILi3EEENS1_20TernaryOpListFunctorIN3c107complexIdEELi3ELi3ELi0EEEJNS0_11LerpFunctorIS8_EEEEEvT_T0_DpT1_.has_recursion, 0
	.set _ZN2at6native12_GLOBAL__N_125multi_tensor_apply_kernelINS1_18TensorListMetadataILi3EEENS1_20TernaryOpListFunctorIN3c107complexIdEELi3ELi3ELi0EEEJNS0_11LerpFunctorIS8_EEEEEvT_T0_DpT1_.has_indirect_call, 0
	.section	.AMDGPU.csdata,"",@progbits
; Kernel info:
; codeLenInByte = 2624
; TotalNumSgprs: 38
; NumVgprs: 66
; NumAgprs: 0
; TotalNumVgprs: 66
; ScratchSize: 0
; MemoryBound: 1
; FloatMode: 240
; IeeeMode: 1
; LDSByteSize: 0 bytes/workgroup (compile time only)
; SGPRBlocks: 4
; VGPRBlocks: 8
; NumSGPRsForWavesPerEU: 38
; NumVGPRsForWavesPerEU: 66
; AccumOffset: 68
; Occupancy: 7
; WaveLimiterHint : 0
; COMPUTE_PGM_RSRC2:SCRATCH_EN: 0
; COMPUTE_PGM_RSRC2:USER_SGPR: 2
; COMPUTE_PGM_RSRC2:TRAP_HANDLER: 0
; COMPUTE_PGM_RSRC2:TGID_X_EN: 1
; COMPUTE_PGM_RSRC2:TGID_Y_EN: 0
; COMPUTE_PGM_RSRC2:TGID_Z_EN: 0
; COMPUTE_PGM_RSRC2:TIDIG_COMP_CNT: 0
; COMPUTE_PGM_RSRC3_GFX90A:ACCUM_OFFSET: 16
; COMPUTE_PGM_RSRC3_GFX90A:TG_SPLIT: 0
	.section	.text._ZN2at6native12_GLOBAL__N_125multi_tensor_apply_kernelINS1_18TensorListMetadataILi3EEENS1_20TernaryOpListFunctorIN3c107complexIfEELi3ELi3ELi0EEEJNS0_11LerpFunctorIS8_EEEEEvT_T0_DpT1_,"axG",@progbits,_ZN2at6native12_GLOBAL__N_125multi_tensor_apply_kernelINS1_18TensorListMetadataILi3EEENS1_20TernaryOpListFunctorIN3c107complexIfEELi3ELi3ELi0EEEJNS0_11LerpFunctorIS8_EEEEEvT_T0_DpT1_,comdat
	.globl	_ZN2at6native12_GLOBAL__N_125multi_tensor_apply_kernelINS1_18TensorListMetadataILi3EEENS1_20TernaryOpListFunctorIN3c107complexIfEELi3ELi3ELi0EEEJNS0_11LerpFunctorIS8_EEEEEvT_T0_DpT1_ ; -- Begin function _ZN2at6native12_GLOBAL__N_125multi_tensor_apply_kernelINS1_18TensorListMetadataILi3EEENS1_20TernaryOpListFunctorIN3c107complexIfEELi3ELi3ELi0EEEJNS0_11LerpFunctorIS8_EEEEEvT_T0_DpT1_
	.p2align	8
	.type	_ZN2at6native12_GLOBAL__N_125multi_tensor_apply_kernelINS1_18TensorListMetadataILi3EEENS1_20TernaryOpListFunctorIN3c107complexIfEELi3ELi3ELi0EEEJNS0_11LerpFunctorIS8_EEEEEvT_T0_DpT1_,@function
_ZN2at6native12_GLOBAL__N_125multi_tensor_apply_kernelINS1_18TensorListMetadataILi3EEENS1_20TernaryOpListFunctorIN3c107complexIfEELi3ELi3ELi0EEEJNS0_11LerpFunctorIS8_EEEEEvT_T0_DpT1_: ; @_ZN2at6native12_GLOBAL__N_125multi_tensor_apply_kernelINS1_18TensorListMetadataILi3EEENS1_20TernaryOpListFunctorIN3c107complexIfEELi3ELi3ELi0EEEJNS0_11LerpFunctorIS8_EEEEEvT_T0_DpT1_
; %bb.0:
	v_mov_b32_e32 v1, s2
	global_load_ubyte v1, v1, s[0:1] offset:1536
	s_add_u32 s3, s0, s2
	s_mul_hi_u32 s4, s2, 3
	s_mul_i32 s2, s2, 3
	s_addc_u32 s5, s1, 0
	s_add_u32 s2, s3, s2
	s_addc_u32 s3, s5, s4
	s_load_dword s14, s[2:3], 0x740
	s_mov_b32 s19, 0
	s_mov_b32 s21, s19
	s_waitcnt lgkmcnt(0)
	s_ashr_i32 s15, s14, 31
	s_lshl_b64 s[8:9], s[14:15], 19
	s_waitcnt vmcnt(0)
	v_readfirstlane_b32 s2, v1
	s_lshl_b32 s10, s2, 3
	s_load_dwordx2 s[2:3], s[0:1], s10 offset:0x0
	s_load_dwordx2 s[4:5], s[0:1], s10 offset:0x180
	;; [unrolled: 1-line block ×4, first 2 shown]
	s_waitcnt lgkmcnt(0)
	s_add_u32 s10, s2, s8
	s_addc_u32 s11, s3, s9
	s_add_u32 s12, s4, s8
	s_addc_u32 s13, s5, s9
	;; [unrolled: 2-line block ×3, first 2 shown]
	s_or_b32 s20, s16, s12
	s_lshl_b64 s[14:15], s[14:15], 16
	s_and_b32 s18, s10, 31
	s_and_b32 s20, s20, 31
	s_cmp_lg_u32 s20, 0
	s_cselect_b64 s[24:25], -1, 0
	s_sub_u32 s14, s22, s14
	s_subb_u32 s15, s23, s15
	s_and_b32 s20, s22, 3
	s_or_b64 s[18:19], s[18:19], s[20:21]
	s_cmp_lg_u64 s[18:19], 0
	s_cselect_b64 s[18:19], -1, 0
	s_or_b64 s[18:19], s[24:25], s[18:19]
	s_andn2_b64 vcc, exec, s[18:19]
	s_mov_b64 s[18:19], -1
	s_cbranch_vccz .LBB9_21
; %bb.1:
	v_mov_b64_e32 v[2:3], 0x10000
	v_cmp_lt_i64_e32 vcc, s[14:15], v[2:3]
	s_and_b64 s[18:19], vcc, exec
	v_mov_b32_e32 v31, 0
	s_cselect_b32 s19, s15, 0
	s_cselect_b32 s18, s14, 0x10000
	v_lshlrev_b32_e32 v30, 2, v0
	v_cmp_gt_i64_e32 vcc, s[18:19], v[30:31]
	s_and_saveexec_b64 s[20:21], vcc
	s_cbranch_execz .LBB9_20
; %bb.2:
	s_load_dword s22, s[0:1], 0xc5c
	v_mov_b32_e32 v1, v31
	s_mov_b32 s23, 0
	v_lshlrev_b32_e32 v30, 5, v0
	s_mov_b64 s[24:25], 0
	s_waitcnt lgkmcnt(0)
	s_and_b32 s22, s22, 0xffff
	s_lshl_b32 s28, s22, 5
	s_mov_b32 s29, 0x3e800000
	v_mov_b64_e32 v[32:33], v[0:1]
	s_branch .LBB9_4
.LBB9_3:                                ;   in Loop: Header=BB9_4 Depth=1
	s_or_b64 exec, exec, s[26:27]
	s_add_u32 s16, s16, s28
	s_addc_u32 s17, s17, 0
	s_add_u32 s10, s10, s28
	v_lshl_add_u64 v[32:33], v[32:33], 0, s[22:23]
	s_addc_u32 s11, s11, 0
	v_lshlrev_b64 v[2:3], 2, v[32:33]
	s_add_u32 s12, s12, s28
	s_addc_u32 s13, s13, 0
	v_cmp_le_i64_e32 vcc, s[18:19], v[2:3]
	s_or_b64 s[24:25], vcc, s[24:25]
	global_store_dwordx4 v[34:35], v[10:13], off
	global_store_dwordx4 v[34:35], v[18:21], off offset:16
	s_andn2_b64 exec, exec, s[24:25]
	s_cbranch_execz .LBB9_20
.LBB9_4:                                ; =>This Inner Loop Header: Depth=1
	v_lshl_add_u64 v[12:13], s[16:17], 0, v[30:31]
	v_lshl_add_u64 v[34:35], s[10:11], 0, v[30:31]
	v_lshl_add_u64 v[10:11], s[12:13], 0, v[30:31]
	global_load_dwordx4 v[2:5], v[12:13], off offset:16
	global_load_dwordx4 v[18:21], v[12:13], off
	global_load_dwordx4 v[6:9], v[34:35], off offset:16
	global_load_dwordx4 v[22:25], v[34:35], off
	global_load_dwordx4 v[26:29], v[10:11], off
	global_load_dwordx4 v[14:17], v[10:11], off offset:16
	s_waitcnt vmcnt(4)
	v_pk_mul_f32 v[10:11], v[18:19], v[18:19]
	s_nop 0
	v_add_f32_e32 v1, v10, v11
	v_cmp_ngt_f32_e32 vcc, s29, v1
	s_waitcnt vmcnt(1)
	v_pk_add_f32 v[12:13], v[26:27], v[22:23] neg_lo:[0,1] neg_hi:[0,1]
                                        ; implicit-def: $vgpr10_vgpr11
	s_and_saveexec_b64 s[26:27], vcc
	s_xor_b64 s[26:27], exec, s[26:27]
; %bb.5:                                ;   in Loop: Header=BB9_4 Depth=1
	v_sub_f32_e32 v36, 0, v19
	v_sub_f32_e32 v10, 1.0, v18
	v_pk_mul_f32 v[36:37], v[12:13], v[36:37] op_sel:[1,0] op_sel_hi:[0,0]
	v_pk_fma_f32 v[38:39], v[12:13], v[10:11], v[36:37] neg_lo:[0,0,1] neg_hi:[0,0,1]
	v_pk_fma_f32 v[10:11], v[12:13], v[10:11], v[36:37] op_sel_hi:[1,0,1]
                                        ; implicit-def: $vgpr12_vgpr13
	s_nop 0
	v_mov_b32_e32 v39, v11
	v_pk_add_f32 v[10:11], v[26:27], v[38:39] neg_lo:[0,1] neg_hi:[0,1]
; %bb.6:                                ;   in Loop: Header=BB9_4 Depth=1
	s_andn2_saveexec_b64 s[26:27], s[26:27]
; %bb.7:                                ;   in Loop: Header=BB9_4 Depth=1
	v_pk_mul_f32 v[10:11], v[12:13], v[18:19] op_sel:[1,1] op_sel_hi:[1,0]
	s_nop 0
	v_pk_fma_f32 v[26:27], v[12:13], v[18:19], v[10:11] neg_lo:[0,0,1] neg_hi:[0,0,1]
	v_pk_fma_f32 v[10:11], v[12:13], v[18:19], v[10:11] op_sel_hi:[0,1,1]
	v_mov_b32_e32 v27, v11
	v_pk_add_f32 v[10:11], v[22:23], v[26:27]
; %bb.8:                                ;   in Loop: Header=BB9_4 Depth=1
	s_or_b64 exec, exec, s[26:27]
	v_pk_mul_f32 v[12:13], v[20:21], v[20:21]
	v_pk_add_f32 v[18:19], v[28:29], v[24:25] neg_lo:[0,1] neg_hi:[0,1]
	v_add_f32_e32 v1, v12, v13
	v_cmp_ngt_f32_e32 vcc, s29, v1
	s_and_saveexec_b64 s[26:27], vcc
	s_xor_b64 s[26:27], exec, s[26:27]
; %bb.9:                                ;   in Loop: Header=BB9_4 Depth=1
	v_sub_f32_e32 v12, 1.0, v20
	v_sub_f32_e32 v20, 0, v21
	v_pk_mul_f32 v[20:21], v[18:19], v[20:21] op_sel:[1,0] op_sel_hi:[0,0]
	v_pk_fma_f32 v[22:23], v[18:19], v[12:13], v[20:21] neg_lo:[0,0,1] neg_hi:[0,0,1]
	v_pk_fma_f32 v[12:13], v[18:19], v[12:13], v[20:21] op_sel_hi:[1,0,1]
                                        ; implicit-def: $vgpr18_vgpr19
                                        ; implicit-def: $vgpr20_vgpr21
                                        ; implicit-def: $vgpr24_vgpr25
	s_nop 0
	v_mov_b32_e32 v23, v13
	v_pk_add_f32 v[12:13], v[28:29], v[22:23] neg_lo:[0,1] neg_hi:[0,1]
; %bb.10:                               ;   in Loop: Header=BB9_4 Depth=1
	s_andn2_saveexec_b64 s[26:27], s[26:27]
; %bb.11:                               ;   in Loop: Header=BB9_4 Depth=1
	v_pk_mul_f32 v[12:13], v[18:19], v[20:21] op_sel:[1,1] op_sel_hi:[1,0]
	s_nop 0
	v_pk_fma_f32 v[22:23], v[18:19], v[20:21], v[12:13] neg_lo:[0,0,1] neg_hi:[0,0,1]
	v_pk_fma_f32 v[12:13], v[18:19], v[20:21], v[12:13] op_sel_hi:[0,1,1]
	v_mov_b32_e32 v23, v13
	v_pk_add_f32 v[12:13], v[24:25], v[22:23]
; %bb.12:                               ;   in Loop: Header=BB9_4 Depth=1
	s_or_b64 exec, exec, s[26:27]
	v_pk_mul_f32 v[18:19], v[2:3], v[2:3]
	s_waitcnt vmcnt(0)
	v_pk_add_f32 v[20:21], v[14:15], v[6:7] neg_lo:[0,1] neg_hi:[0,1]
	v_add_f32_e32 v1, v18, v19
	v_cmp_ngt_f32_e32 vcc, s29, v1
                                        ; implicit-def: $vgpr18_vgpr19
	s_and_saveexec_b64 s[26:27], vcc
	s_xor_b64 s[26:27], exec, s[26:27]
; %bb.13:                               ;   in Loop: Header=BB9_4 Depth=1
	v_sub_f32_e32 v22, 0, v3
	v_sub_f32_e32 v18, 1.0, v2
	v_pk_mul_f32 v[22:23], v[20:21], v[22:23] op_sel:[1,0] op_sel_hi:[0,0]
	v_pk_fma_f32 v[24:25], v[20:21], v[18:19], v[22:23] neg_lo:[0,0,1] neg_hi:[0,0,1]
	v_pk_fma_f32 v[18:19], v[20:21], v[18:19], v[22:23] op_sel_hi:[1,0,1]
                                        ; implicit-def: $vgpr20_vgpr21
	s_nop 0
	v_mov_b32_e32 v25, v19
	v_pk_add_f32 v[18:19], v[14:15], v[24:25] neg_lo:[0,1] neg_hi:[0,1]
; %bb.14:                               ;   in Loop: Header=BB9_4 Depth=1
	s_andn2_saveexec_b64 s[26:27], s[26:27]
; %bb.15:                               ;   in Loop: Header=BB9_4 Depth=1
	v_pk_mul_f32 v[14:15], v[20:21], v[2:3] op_sel:[1,1] op_sel_hi:[1,0]
	s_nop 0
	v_pk_fma_f32 v[18:19], v[20:21], v[2:3], v[14:15] neg_lo:[0,0,1] neg_hi:[0,0,1]
	v_pk_fma_f32 v[2:3], v[20:21], v[2:3], v[14:15] op_sel_hi:[0,1,1]
	v_mov_b32_e32 v19, v3
	v_pk_add_f32 v[18:19], v[6:7], v[18:19]
; %bb.16:                               ;   in Loop: Header=BB9_4 Depth=1
	s_or_b64 exec, exec, s[26:27]
	v_pk_mul_f32 v[2:3], v[4:5], v[4:5]
	s_nop 0
	v_add_f32_e32 v1, v2, v3
	v_cmp_ngt_f32_e32 vcc, s29, v1
	v_pk_add_f32 v[2:3], v[16:17], v[8:9] neg_lo:[0,1] neg_hi:[0,1]
	s_and_saveexec_b64 s[26:27], vcc
	s_xor_b64 s[26:27], exec, s[26:27]
; %bb.17:                               ;   in Loop: Header=BB9_4 Depth=1
	v_sub_f32_e32 v6, 0, v5
	v_sub_f32_e32 v4, 1.0, v4
	v_pk_mul_f32 v[6:7], v[2:3], v[6:7] op_sel:[1,0] op_sel_hi:[0,0]
	v_pk_fma_f32 v[8:9], v[2:3], v[4:5], v[6:7] neg_lo:[0,0,1] neg_hi:[0,0,1]
	v_pk_fma_f32 v[2:3], v[2:3], v[4:5], v[6:7] op_sel_hi:[1,0,1]
                                        ; implicit-def: $vgpr4_vgpr5
	s_nop 0
	v_mov_b32_e32 v9, v3
	v_pk_add_f32 v[20:21], v[16:17], v[8:9] neg_lo:[0,1] neg_hi:[0,1]
                                        ; implicit-def: $vgpr2_vgpr3
                                        ; implicit-def: $vgpr8_vgpr9
; %bb.18:                               ;   in Loop: Header=BB9_4 Depth=1
	s_andn2_saveexec_b64 s[26:27], s[26:27]
	s_cbranch_execz .LBB9_3
; %bb.19:                               ;   in Loop: Header=BB9_4 Depth=1
	v_pk_mul_f32 v[6:7], v[2:3], v[4:5] op_sel:[1,1] op_sel_hi:[1,0]
	s_nop 0
	v_pk_fma_f32 v[14:15], v[2:3], v[4:5], v[6:7] neg_lo:[0,0,1] neg_hi:[0,0,1]
	v_pk_fma_f32 v[2:3], v[2:3], v[4:5], v[6:7] op_sel_hi:[0,1,1]
	v_mov_b32_e32 v15, v3
	v_pk_add_f32 v[20:21], v[8:9], v[14:15]
	s_branch .LBB9_3
.LBB9_20:
	s_or_b64 exec, exec, s[20:21]
	s_mov_b64 s[18:19], 0
.LBB9_21:
	s_andn2_b64 vcc, exec, s[18:19]
	s_cbranch_vccnz .LBB9_65
; %bb.22:
	v_cmp_lt_i64_e64 s[10:11], s[14:15], 1
	s_and_b64 vcc, exec, s[10:11]
	s_cbranch_vccnz .LBB9_65
; %bb.23:
	s_load_dword s10, s[0:1], 0xc5c
	v_mov_b64_e32 v[2:3], 0x10000
	v_cmp_lt_i64_e32 vcc, s[14:15], v[2:3]
	s_and_b64 s[0:1], vcc, exec
	s_mov_b32 s11, 0
	s_cselect_b32 s13, s15, 0
	s_cselect_b32 s12, s14, 0x10000
	s_waitcnt lgkmcnt(0)
	s_and_b32 s10, s10, 0xffff
	v_cmp_lt_u64_e32 vcc, s[14:15], v[2:3]
	v_mov_b32_e32 v1, 0
	s_and_b64 s[0:1], vcc, exec
	s_mul_i32 s18, s10, 3
	s_mov_b32 s19, s11
	s_cselect_b32 s15, s15, 0
	s_cselect_b32 s14, s14, 0x10000
	v_lshlrev_b32_e32 v16, 3, v0
	v_mov_b32_e32 v17, v1
	v_lshl_add_u64 v[14:15], s[18:19], 0, v[0:1]
	s_lshl_b32 s18, s10, 4
	v_lshl_add_u64 v[24:25], v[0:1], 0, s[10:11]
	s_lshl_b32 s0, s10, 1
	s_mov_b32 s1, s11
	v_mad_u64_u32 v[12:13], s[22:23], s10, 24, v[16:17]
	v_lshl_add_u64 v[20:21], s[18:19], 0, v[16:17]
	v_lshlrev_b32_e32 v30, 3, v24
	v_mov_b32_e32 v31, v1
	s_lshl_b32 s20, s10, 2
	v_lshl_add_u64 v[2:3], s[4:5], 0, v[16:17]
	s_lshl_b32 s16, s10, 5
	s_mov_b32 s17, s11
	v_lshl_add_u64 v[4:5], s[2:3], 0, v[16:17]
	v_lshl_add_u64 v[6:7], s[6:7], 0, v[16:17]
	;; [unrolled: 1-line block ×12, first 2 shown]
	s_mov_b64 s[18:19], 0
	s_mov_b32 s21, 0x3e800000
	s_mov_b32 s10, 1.0
	s_branch .LBB9_25
.LBB9_24:                               ;   in Loop: Header=BB9_25 Depth=1
	s_or_b64 exec, exec, s[0:1]
	s_add_u32 s18, s18, s20
	s_addc_u32 s19, s19, 0
	v_mov_b64_e32 v[32:33], s[12:13]
	v_cmp_ge_i64_e32 vcc, s[18:19], v[32:33]
	v_lshl_add_u64 v[2:3], v[2:3], 0, s[16:17]
	v_lshl_add_u64 v[4:5], v[4:5], 0, s[16:17]
	v_lshl_add_u64 v[6:7], v[6:7], 0, s[16:17]
	v_lshl_add_u64 v[8:9], v[8:9], 0, s[16:17]
	v_lshl_add_u64 v[10:11], v[10:11], 0, s[16:17]
	v_lshl_add_u64 v[12:13], v[12:13], 0, s[16:17]
	v_lshl_add_u64 v[16:17], v[16:17], 0, s[16:17]
	v_lshl_add_u64 v[18:19], v[18:19], 0, s[16:17]
	v_lshl_add_u64 v[20:21], v[20:21], 0, s[16:17]
	v_lshl_add_u64 v[26:27], v[26:27], 0, s[16:17]
	v_lshl_add_u64 v[28:29], v[28:29], 0, s[16:17]
	v_lshl_add_u64 v[30:31], v[30:31], 0, s[16:17]
	s_cbranch_vccnz .LBB9_65
.LBB9_25:                               ; =>This Inner Loop Header: Depth=1
	v_lshl_add_u64 v[32:33], v[0:1], 0, s[18:19]
	v_cmp_gt_u64_e32 vcc, s[14:15], v[32:33]
	v_mov_b32_e32 v40, 0
	v_mov_b32_e32 v41, 0
	;; [unrolled: 1-line block ×4, first 2 shown]
	s_and_saveexec_b64 s[0:1], vcc
	s_cbranch_execz .LBB9_27
; %bb.26:                               ;   in Loop: Header=BB9_25 Depth=1
	v_lshl_add_u64 v[34:35], v[4:5], 0, s[8:9]
	v_lshl_add_u64 v[32:33], v[2:3], 0, s[8:9]
	global_load_dwordx2 v[40:41], v[34:35], off
	global_load_dwordx2 v[48:49], v[32:33], off
.LBB9_27:                               ;   in Loop: Header=BB9_25 Depth=1
	s_or_b64 exec, exec, s[0:1]
	v_mov_b32_e32 v36, 0
	v_mov_b32_e32 v54, 0
	;; [unrolled: 1-line block ×3, first 2 shown]
	s_and_saveexec_b64 s[0:1], vcc
	s_cbranch_execz .LBB9_29
; %bb.28:                               ;   in Loop: Header=BB9_25 Depth=1
	v_lshl_add_u64 v[32:33], v[6:7], 0, s[8:9]
	global_load_dwordx2 v[54:55], v[32:33], off
.LBB9_29:                               ;   in Loop: Header=BB9_25 Depth=1
	s_or_b64 exec, exec, s[0:1]
	v_lshl_add_u64 v[32:33], v[24:25], 0, s[18:19]
	v_cmp_gt_u64_e64 s[0:1], s[14:15], v[32:33]
	v_mov_b32_e32 v37, 0
	v_mov_b32_e32 v44, 0
	;; [unrolled: 1-line block ×3, first 2 shown]
	s_and_saveexec_b64 s[2:3], s[0:1]
	s_cbranch_execz .LBB9_31
; %bb.30:                               ;   in Loop: Header=BB9_25 Depth=1
	v_lshl_add_u64 v[34:35], v[28:29], 0, s[8:9]
	v_lshl_add_u64 v[32:33], v[26:27], 0, s[8:9]
	global_load_dwordx2 v[36:37], v[34:35], off
	global_load_dwordx2 v[44:45], v[32:33], off
.LBB9_31:                               ;   in Loop: Header=BB9_25 Depth=1
	s_or_b64 exec, exec, s[2:3]
	v_mov_b32_e32 v34, 0
	v_mov_b32_e32 v52, 0
	;; [unrolled: 1-line block ×3, first 2 shown]
	s_and_saveexec_b64 s[2:3], s[0:1]
	s_cbranch_execz .LBB9_33
; %bb.32:                               ;   in Loop: Header=BB9_25 Depth=1
	v_lshl_add_u64 v[32:33], v[30:31], 0, s[8:9]
	global_load_dwordx2 v[52:53], v[32:33], off
.LBB9_33:                               ;   in Loop: Header=BB9_25 Depth=1
	s_or_b64 exec, exec, s[2:3]
	v_lshl_add_u64 v[32:33], v[22:23], 0, s[18:19]
	v_cmp_gt_u64_e64 s[2:3], s[14:15], v[32:33]
	v_mov_b32_e32 v35, 0
	v_mov_b32_e32 v42, 0
	;; [unrolled: 1-line block ×3, first 2 shown]
	s_and_saveexec_b64 s[4:5], s[2:3]
	s_cbranch_execz .LBB9_35
; %bb.34:                               ;   in Loop: Header=BB9_25 Depth=1
	v_lshl_add_u64 v[38:39], v[18:19], 0, s[8:9]
	v_lshl_add_u64 v[32:33], v[16:17], 0, s[8:9]
	global_load_dwordx2 v[34:35], v[38:39], off
	global_load_dwordx2 v[42:43], v[32:33], off
.LBB9_35:                               ;   in Loop: Header=BB9_25 Depth=1
	s_or_b64 exec, exec, s[4:5]
	v_mov_b32_e32 v32, 0
	v_mov_b32_e32 v50, 0
	;; [unrolled: 1-line block ×3, first 2 shown]
	s_and_saveexec_b64 s[4:5], s[2:3]
	s_cbranch_execz .LBB9_37
; %bb.36:                               ;   in Loop: Header=BB9_25 Depth=1
	v_lshl_add_u64 v[38:39], v[20:21], 0, s[8:9]
	global_load_dwordx2 v[50:51], v[38:39], off
.LBB9_37:                               ;   in Loop: Header=BB9_25 Depth=1
	s_or_b64 exec, exec, s[4:5]
	v_lshl_add_u64 v[38:39], v[14:15], 0, s[18:19]
	v_cmp_gt_u64_e64 s[4:5], s[14:15], v[38:39]
	v_mov_b32_e32 v33, 0
	v_mov_b32_e32 v38, 0
	;; [unrolled: 1-line block ×3, first 2 shown]
	s_and_saveexec_b64 s[6:7], s[4:5]
	s_cbranch_execz .LBB9_39
; %bb.38:                               ;   in Loop: Header=BB9_25 Depth=1
	v_lshl_add_u64 v[56:57], v[10:11], 0, s[8:9]
	v_lshl_add_u64 v[46:47], v[8:9], 0, s[8:9]
	global_load_dwordx2 v[32:33], v[56:57], off
	global_load_dwordx2 v[38:39], v[46:47], off
.LBB9_39:                               ;   in Loop: Header=BB9_25 Depth=1
	s_or_b64 exec, exec, s[6:7]
	v_mov_b32_e32 v46, 0
	v_mov_b32_e32 v47, v46
	s_and_saveexec_b64 s[6:7], s[4:5]
	s_cbranch_execz .LBB9_41
; %bb.40:                               ;   in Loop: Header=BB9_25 Depth=1
	v_lshl_add_u64 v[46:47], v[12:13], 0, s[8:9]
	global_load_dwordx2 v[46:47], v[46:47], off
.LBB9_41:                               ;   in Loop: Header=BB9_25 Depth=1
	s_or_b64 exec, exec, s[6:7]
	s_waitcnt vmcnt(0)
	v_pk_mul_f32 v[56:57], v[54:55], v[54:55]
	v_pk_add_f32 v[58:59], v[48:49], v[40:41] neg_lo:[0,1] neg_hi:[0,1]
	v_add_f32_e32 v56, v57, v56
	v_cmp_ngt_f32_e64 s[6:7], s21, v56
                                        ; implicit-def: $vgpr56_vgpr57
	s_and_saveexec_b64 s[22:23], s[6:7]
	s_xor_b64 s[6:7], exec, s[22:23]
; %bb.42:                               ;   in Loop: Header=BB9_25 Depth=1
	v_pk_add_f32 v[40:41], v[54:55], s[10:11] neg_lo:[1,0] neg_hi:[1,0]
	s_nop 0
	v_pk_mul_f32 v[54:55], v[58:59], v[40:41] op_sel:[1,1] op_sel_hi:[1,0]
	s_nop 0
	v_pk_fma_f32 v[56:57], v[58:59], v[40:41], v[54:55] neg_lo:[0,0,1] neg_hi:[0,0,1]
	v_pk_fma_f32 v[40:41], v[58:59], v[40:41], v[54:55] op_sel_hi:[0,1,1]
	v_mov_b32_e32 v57, v41
	v_pk_add_f32 v[56:57], v[48:49], v[56:57] neg_lo:[0,1] neg_hi:[0,1]
                                        ; implicit-def: $vgpr58_vgpr59
                                        ; implicit-def: $vgpr54_vgpr55
                                        ; implicit-def: $vgpr40_vgpr41
; %bb.43:                               ;   in Loop: Header=BB9_25 Depth=1
	s_andn2_saveexec_b64 s[6:7], s[6:7]
; %bb.44:                               ;   in Loop: Header=BB9_25 Depth=1
	v_pk_mul_f32 v[48:49], v[58:59], v[54:55] op_sel:[1,1] op_sel_hi:[1,0]
	s_nop 0
	v_pk_fma_f32 v[56:57], v[58:59], v[54:55], v[48:49] neg_lo:[0,0,1] neg_hi:[0,0,1]
	v_pk_fma_f32 v[48:49], v[58:59], v[54:55], v[48:49] op_sel_hi:[0,1,1]
	v_mov_b32_e32 v57, v49
	v_pk_add_f32 v[56:57], v[40:41], v[56:57]
; %bb.45:                               ;   in Loop: Header=BB9_25 Depth=1
	s_or_b64 exec, exec, s[6:7]
	v_pk_mul_f32 v[40:41], v[52:53], v[52:53]
	v_pk_add_f32 v[48:49], v[44:45], v[36:37] neg_lo:[0,1] neg_hi:[0,1]
	v_add_f32_e32 v40, v41, v40
	v_cmp_ngt_f32_e64 s[6:7], s21, v40
                                        ; implicit-def: $vgpr40_vgpr41
	s_and_saveexec_b64 s[22:23], s[6:7]
	s_xor_b64 s[6:7], exec, s[22:23]
; %bb.46:                               ;   in Loop: Header=BB9_25 Depth=1
	v_pk_add_f32 v[36:37], v[52:53], s[10:11] neg_lo:[1,0] neg_hi:[1,0]
	s_nop 0
	v_pk_mul_f32 v[40:41], v[48:49], v[36:37] op_sel:[1,1] op_sel_hi:[1,0]
	s_nop 0
	v_pk_fma_f32 v[52:53], v[48:49], v[36:37], v[40:41] neg_lo:[0,0,1] neg_hi:[0,0,1]
	v_pk_fma_f32 v[36:37], v[48:49], v[36:37], v[40:41] op_sel_hi:[0,1,1]
	v_mov_b32_e32 v53, v37
	v_pk_add_f32 v[40:41], v[44:45], v[52:53] neg_lo:[0,1] neg_hi:[0,1]
                                        ; implicit-def: $vgpr48_vgpr49
                                        ; implicit-def: $vgpr52_vgpr53
                                        ; implicit-def: $vgpr36_vgpr37
; %bb.47:                               ;   in Loop: Header=BB9_25 Depth=1
	s_andn2_saveexec_b64 s[6:7], s[6:7]
; %bb.48:                               ;   in Loop: Header=BB9_25 Depth=1
	v_pk_mul_f32 v[40:41], v[48:49], v[52:53] op_sel:[1,1] op_sel_hi:[1,0]
	s_nop 0
	v_pk_fma_f32 v[44:45], v[48:49], v[52:53], v[40:41] neg_lo:[0,0,1] neg_hi:[0,0,1]
	v_pk_fma_f32 v[40:41], v[48:49], v[52:53], v[40:41] op_sel_hi:[0,1,1]
	v_mov_b32_e32 v45, v41
	v_pk_add_f32 v[40:41], v[36:37], v[44:45]
; %bb.49:                               ;   in Loop: Header=BB9_25 Depth=1
	s_or_b64 exec, exec, s[6:7]
	v_pk_mul_f32 v[36:37], v[50:51], v[50:51]
	v_pk_add_f32 v[44:45], v[42:43], v[34:35] neg_lo:[0,1] neg_hi:[0,1]
	v_add_f32_e32 v36, v37, v36
	v_cmp_ngt_f32_e64 s[6:7], s21, v36
                                        ; implicit-def: $vgpr36_vgpr37
	s_and_saveexec_b64 s[22:23], s[6:7]
	s_xor_b64 s[6:7], exec, s[22:23]
; %bb.50:                               ;   in Loop: Header=BB9_25 Depth=1
	v_pk_add_f32 v[34:35], v[50:51], s[10:11] neg_lo:[1,0] neg_hi:[1,0]
                                        ; implicit-def: $vgpr50_vgpr51
	s_nop 0
	v_pk_mul_f32 v[36:37], v[44:45], v[34:35] op_sel:[1,1] op_sel_hi:[1,0]
	s_nop 0
	v_pk_fma_f32 v[48:49], v[44:45], v[34:35], v[36:37] neg_lo:[0,0,1] neg_hi:[0,0,1]
	v_pk_fma_f32 v[34:35], v[44:45], v[34:35], v[36:37] op_sel_hi:[0,1,1]
	v_mov_b32_e32 v49, v35
	v_pk_add_f32 v[36:37], v[42:43], v[48:49] neg_lo:[0,1] neg_hi:[0,1]
                                        ; implicit-def: $vgpr44_vgpr45
                                        ; implicit-def: $vgpr34_vgpr35
; %bb.51:                               ;   in Loop: Header=BB9_25 Depth=1
	s_andn2_saveexec_b64 s[6:7], s[6:7]
; %bb.52:                               ;   in Loop: Header=BB9_25 Depth=1
	v_pk_mul_f32 v[36:37], v[44:45], v[50:51] op_sel:[1,1] op_sel_hi:[1,0]
	s_nop 0
	v_pk_fma_f32 v[42:43], v[44:45], v[50:51], v[36:37] neg_lo:[0,0,1] neg_hi:[0,0,1]
	v_pk_fma_f32 v[36:37], v[44:45], v[50:51], v[36:37] op_sel_hi:[0,1,1]
	v_mov_b32_e32 v43, v37
	v_pk_add_f32 v[36:37], v[34:35], v[42:43]
; %bb.53:                               ;   in Loop: Header=BB9_25 Depth=1
	s_or_b64 exec, exec, s[6:7]
	v_pk_mul_f32 v[34:35], v[46:47], v[46:47]
	v_pk_add_f32 v[42:43], v[38:39], v[32:33] neg_lo:[0,1] neg_hi:[0,1]
	v_add_f32_e32 v34, v35, v34
	v_cmp_ngt_f32_e64 s[6:7], s21, v34
                                        ; implicit-def: $vgpr34_vgpr35
	s_and_saveexec_b64 s[22:23], s[6:7]
	s_xor_b64 s[6:7], exec, s[22:23]
	s_cbranch_execnz .LBB9_59
; %bb.54:                               ;   in Loop: Header=BB9_25 Depth=1
	s_andn2_saveexec_b64 s[6:7], s[6:7]
	s_cbranch_execnz .LBB9_60
.LBB9_55:                               ;   in Loop: Header=BB9_25 Depth=1
	s_or_b64 exec, exec, s[6:7]
	s_and_saveexec_b64 s[6:7], vcc
	s_xor_b64 s[6:7], exec, s[6:7]
	s_cbranch_execnz .LBB9_61
.LBB9_56:                               ;   in Loop: Header=BB9_25 Depth=1
	s_or_b64 exec, exec, s[6:7]
	s_and_saveexec_b64 s[6:7], s[0:1]
	s_cbranch_execnz .LBB9_62
.LBB9_57:                               ;   in Loop: Header=BB9_25 Depth=1
	s_or_b64 exec, exec, s[6:7]
	s_and_saveexec_b64 s[0:1], s[2:3]
	s_cbranch_execnz .LBB9_63
.LBB9_58:                               ;   in Loop: Header=BB9_25 Depth=1
	s_or_b64 exec, exec, s[0:1]
	s_and_saveexec_b64 s[0:1], s[4:5]
	s_cbranch_execz .LBB9_24
	s_branch .LBB9_64
.LBB9_59:                               ;   in Loop: Header=BB9_25 Depth=1
	v_pk_add_f32 v[32:33], v[46:47], s[10:11] neg_lo:[1,0] neg_hi:[1,0]
                                        ; implicit-def: $vgpr46_vgpr47
	s_nop 0
	v_pk_mul_f32 v[34:35], v[42:43], v[32:33] op_sel:[1,1] op_sel_hi:[1,0]
	s_nop 0
	v_pk_fma_f32 v[44:45], v[42:43], v[32:33], v[34:35] neg_lo:[0,0,1] neg_hi:[0,0,1]
	v_pk_fma_f32 v[32:33], v[42:43], v[32:33], v[34:35] op_sel_hi:[0,1,1]
	v_mov_b32_e32 v45, v33
	v_pk_add_f32 v[34:35], v[38:39], v[44:45] neg_lo:[0,1] neg_hi:[0,1]
                                        ; implicit-def: $vgpr42_vgpr43
                                        ; implicit-def: $vgpr32_vgpr33
	s_andn2_saveexec_b64 s[6:7], s[6:7]
	s_cbranch_execz .LBB9_55
.LBB9_60:                               ;   in Loop: Header=BB9_25 Depth=1
	v_pk_mul_f32 v[34:35], v[42:43], v[46:47] op_sel:[1,1] op_sel_hi:[1,0]
	s_nop 0
	v_pk_fma_f32 v[38:39], v[42:43], v[46:47], v[34:35] neg_lo:[0,0,1] neg_hi:[0,0,1]
	v_pk_fma_f32 v[34:35], v[42:43], v[46:47], v[34:35] op_sel_hi:[0,1,1]
	v_mov_b32_e32 v39, v35
	v_pk_add_f32 v[34:35], v[32:33], v[38:39]
	s_or_b64 exec, exec, s[6:7]
	s_and_saveexec_b64 s[6:7], vcc
	s_xor_b64 s[6:7], exec, s[6:7]
	s_cbranch_execz .LBB9_56
.LBB9_61:                               ;   in Loop: Header=BB9_25 Depth=1
	v_lshl_add_u64 v[32:33], v[4:5], 0, s[8:9]
	global_store_dwordx2 v[32:33], v[56:57], off
	s_or_b64 exec, exec, s[6:7]
	s_and_saveexec_b64 s[6:7], s[0:1]
	s_cbranch_execz .LBB9_57
.LBB9_62:                               ;   in Loop: Header=BB9_25 Depth=1
	v_lshl_add_u64 v[32:33], v[28:29], 0, s[8:9]
	global_store_dwordx2 v[32:33], v[40:41], off
	s_or_b64 exec, exec, s[6:7]
	s_and_saveexec_b64 s[0:1], s[2:3]
	s_cbranch_execz .LBB9_58
.LBB9_63:                               ;   in Loop: Header=BB9_25 Depth=1
	v_lshl_add_u64 v[32:33], v[18:19], 0, s[8:9]
	global_store_dwordx2 v[32:33], v[36:37], off
	s_or_b64 exec, exec, s[0:1]
	s_and_saveexec_b64 s[0:1], s[4:5]
	s_cbranch_execz .LBB9_24
.LBB9_64:                               ;   in Loop: Header=BB9_25 Depth=1
	v_lshl_add_u64 v[32:33], v[10:11], 0, s[8:9]
	global_store_dwordx2 v[32:33], v[34:35], off
	s_branch .LBB9_24
.LBB9_65:
	s_endpgm
	.section	.rodata,"a",@progbits
	.p2align	6, 0x0
	.amdhsa_kernel _ZN2at6native12_GLOBAL__N_125multi_tensor_apply_kernelINS1_18TensorListMetadataILi3EEENS1_20TernaryOpListFunctorIN3c107complexIfEELi3ELi3ELi0EEEJNS0_11LerpFunctorIS8_EEEEEvT_T0_DpT1_
		.amdhsa_group_segment_fixed_size 0
		.amdhsa_private_segment_fixed_size 0
		.amdhsa_kernarg_size 3408
		.amdhsa_user_sgpr_count 2
		.amdhsa_user_sgpr_dispatch_ptr 0
		.amdhsa_user_sgpr_queue_ptr 0
		.amdhsa_user_sgpr_kernarg_segment_ptr 1
		.amdhsa_user_sgpr_dispatch_id 0
		.amdhsa_user_sgpr_kernarg_preload_length 0
		.amdhsa_user_sgpr_kernarg_preload_offset 0
		.amdhsa_user_sgpr_private_segment_size 0
		.amdhsa_uses_dynamic_stack 0
		.amdhsa_enable_private_segment 0
		.amdhsa_system_sgpr_workgroup_id_x 1
		.amdhsa_system_sgpr_workgroup_id_y 0
		.amdhsa_system_sgpr_workgroup_id_z 0
		.amdhsa_system_sgpr_workgroup_info 0
		.amdhsa_system_vgpr_workitem_id 0
		.amdhsa_next_free_vgpr 60
		.amdhsa_next_free_sgpr 30
		.amdhsa_accum_offset 60
		.amdhsa_reserve_vcc 1
		.amdhsa_float_round_mode_32 0
		.amdhsa_float_round_mode_16_64 0
		.amdhsa_float_denorm_mode_32 3
		.amdhsa_float_denorm_mode_16_64 3
		.amdhsa_dx10_clamp 1
		.amdhsa_ieee_mode 1
		.amdhsa_fp16_overflow 0
		.amdhsa_tg_split 0
		.amdhsa_exception_fp_ieee_invalid_op 0
		.amdhsa_exception_fp_denorm_src 0
		.amdhsa_exception_fp_ieee_div_zero 0
		.amdhsa_exception_fp_ieee_overflow 0
		.amdhsa_exception_fp_ieee_underflow 0
		.amdhsa_exception_fp_ieee_inexact 0
		.amdhsa_exception_int_div_zero 0
	.end_amdhsa_kernel
	.section	.text._ZN2at6native12_GLOBAL__N_125multi_tensor_apply_kernelINS1_18TensorListMetadataILi3EEENS1_20TernaryOpListFunctorIN3c107complexIfEELi3ELi3ELi0EEEJNS0_11LerpFunctorIS8_EEEEEvT_T0_DpT1_,"axG",@progbits,_ZN2at6native12_GLOBAL__N_125multi_tensor_apply_kernelINS1_18TensorListMetadataILi3EEENS1_20TernaryOpListFunctorIN3c107complexIfEELi3ELi3ELi0EEEJNS0_11LerpFunctorIS8_EEEEEvT_T0_DpT1_,comdat
.Lfunc_end9:
	.size	_ZN2at6native12_GLOBAL__N_125multi_tensor_apply_kernelINS1_18TensorListMetadataILi3EEENS1_20TernaryOpListFunctorIN3c107complexIfEELi3ELi3ELi0EEEJNS0_11LerpFunctorIS8_EEEEEvT_T0_DpT1_, .Lfunc_end9-_ZN2at6native12_GLOBAL__N_125multi_tensor_apply_kernelINS1_18TensorListMetadataILi3EEENS1_20TernaryOpListFunctorIN3c107complexIfEELi3ELi3ELi0EEEJNS0_11LerpFunctorIS8_EEEEEvT_T0_DpT1_
                                        ; -- End function
	.set _ZN2at6native12_GLOBAL__N_125multi_tensor_apply_kernelINS1_18TensorListMetadataILi3EEENS1_20TernaryOpListFunctorIN3c107complexIfEELi3ELi3ELi0EEEJNS0_11LerpFunctorIS8_EEEEEvT_T0_DpT1_.num_vgpr, 60
	.set _ZN2at6native12_GLOBAL__N_125multi_tensor_apply_kernelINS1_18TensorListMetadataILi3EEENS1_20TernaryOpListFunctorIN3c107complexIfEELi3ELi3ELi0EEEJNS0_11LerpFunctorIS8_EEEEEvT_T0_DpT1_.num_agpr, 0
	.set _ZN2at6native12_GLOBAL__N_125multi_tensor_apply_kernelINS1_18TensorListMetadataILi3EEENS1_20TernaryOpListFunctorIN3c107complexIfEELi3ELi3ELi0EEEJNS0_11LerpFunctorIS8_EEEEEvT_T0_DpT1_.numbered_sgpr, 30
	.set _ZN2at6native12_GLOBAL__N_125multi_tensor_apply_kernelINS1_18TensorListMetadataILi3EEENS1_20TernaryOpListFunctorIN3c107complexIfEELi3ELi3ELi0EEEJNS0_11LerpFunctorIS8_EEEEEvT_T0_DpT1_.num_named_barrier, 0
	.set _ZN2at6native12_GLOBAL__N_125multi_tensor_apply_kernelINS1_18TensorListMetadataILi3EEENS1_20TernaryOpListFunctorIN3c107complexIfEELi3ELi3ELi0EEEJNS0_11LerpFunctorIS8_EEEEEvT_T0_DpT1_.private_seg_size, 0
	.set _ZN2at6native12_GLOBAL__N_125multi_tensor_apply_kernelINS1_18TensorListMetadataILi3EEENS1_20TernaryOpListFunctorIN3c107complexIfEELi3ELi3ELi0EEEJNS0_11LerpFunctorIS8_EEEEEvT_T0_DpT1_.uses_vcc, 1
	.set _ZN2at6native12_GLOBAL__N_125multi_tensor_apply_kernelINS1_18TensorListMetadataILi3EEENS1_20TernaryOpListFunctorIN3c107complexIfEELi3ELi3ELi0EEEJNS0_11LerpFunctorIS8_EEEEEvT_T0_DpT1_.uses_flat_scratch, 0
	.set _ZN2at6native12_GLOBAL__N_125multi_tensor_apply_kernelINS1_18TensorListMetadataILi3EEENS1_20TernaryOpListFunctorIN3c107complexIfEELi3ELi3ELi0EEEJNS0_11LerpFunctorIS8_EEEEEvT_T0_DpT1_.has_dyn_sized_stack, 0
	.set _ZN2at6native12_GLOBAL__N_125multi_tensor_apply_kernelINS1_18TensorListMetadataILi3EEENS1_20TernaryOpListFunctorIN3c107complexIfEELi3ELi3ELi0EEEJNS0_11LerpFunctorIS8_EEEEEvT_T0_DpT1_.has_recursion, 0
	.set _ZN2at6native12_GLOBAL__N_125multi_tensor_apply_kernelINS1_18TensorListMetadataILi3EEENS1_20TernaryOpListFunctorIN3c107complexIfEELi3ELi3ELi0EEEJNS0_11LerpFunctorIS8_EEEEEvT_T0_DpT1_.has_indirect_call, 0
	.section	.AMDGPU.csdata,"",@progbits
; Kernel info:
; codeLenInByte = 2604
; TotalNumSgprs: 36
; NumVgprs: 60
; NumAgprs: 0
; TotalNumVgprs: 60
; ScratchSize: 0
; MemoryBound: 1
; FloatMode: 240
; IeeeMode: 1
; LDSByteSize: 0 bytes/workgroup (compile time only)
; SGPRBlocks: 4
; VGPRBlocks: 7
; NumSGPRsForWavesPerEU: 36
; NumVGPRsForWavesPerEU: 60
; AccumOffset: 60
; Occupancy: 8
; WaveLimiterHint : 0
; COMPUTE_PGM_RSRC2:SCRATCH_EN: 0
; COMPUTE_PGM_RSRC2:USER_SGPR: 2
; COMPUTE_PGM_RSRC2:TRAP_HANDLER: 0
; COMPUTE_PGM_RSRC2:TGID_X_EN: 1
; COMPUTE_PGM_RSRC2:TGID_Y_EN: 0
; COMPUTE_PGM_RSRC2:TGID_Z_EN: 0
; COMPUTE_PGM_RSRC2:TIDIG_COMP_CNT: 0
; COMPUTE_PGM_RSRC3_GFX90A:ACCUM_OFFSET: 14
; COMPUTE_PGM_RSRC3_GFX90A:TG_SPLIT: 0
	.section	.text._ZN2at6native12_GLOBAL__N_125multi_tensor_apply_kernelINS1_18TensorListMetadataILi3EEENS1_20TernaryOpListFunctorIN3c104HalfELi3ELi3ELi0EEEJNS0_11LerpFunctorIfEEEEEvT_T0_DpT1_,"axG",@progbits,_ZN2at6native12_GLOBAL__N_125multi_tensor_apply_kernelINS1_18TensorListMetadataILi3EEENS1_20TernaryOpListFunctorIN3c104HalfELi3ELi3ELi0EEEJNS0_11LerpFunctorIfEEEEEvT_T0_DpT1_,comdat
	.globl	_ZN2at6native12_GLOBAL__N_125multi_tensor_apply_kernelINS1_18TensorListMetadataILi3EEENS1_20TernaryOpListFunctorIN3c104HalfELi3ELi3ELi0EEEJNS0_11LerpFunctorIfEEEEEvT_T0_DpT1_ ; -- Begin function _ZN2at6native12_GLOBAL__N_125multi_tensor_apply_kernelINS1_18TensorListMetadataILi3EEENS1_20TernaryOpListFunctorIN3c104HalfELi3ELi3ELi0EEEJNS0_11LerpFunctorIfEEEEEvT_T0_DpT1_
	.p2align	8
	.type	_ZN2at6native12_GLOBAL__N_125multi_tensor_apply_kernelINS1_18TensorListMetadataILi3EEENS1_20TernaryOpListFunctorIN3c104HalfELi3ELi3ELi0EEEJNS0_11LerpFunctorIfEEEEEvT_T0_DpT1_,@function
_ZN2at6native12_GLOBAL__N_125multi_tensor_apply_kernelINS1_18TensorListMetadataILi3EEENS1_20TernaryOpListFunctorIN3c104HalfELi3ELi3ELi0EEEJNS0_11LerpFunctorIfEEEEEvT_T0_DpT1_: ; @_ZN2at6native12_GLOBAL__N_125multi_tensor_apply_kernelINS1_18TensorListMetadataILi3EEENS1_20TernaryOpListFunctorIN3c104HalfELi3ELi3ELi0EEEJNS0_11LerpFunctorIfEEEEEvT_T0_DpT1_
; %bb.0:
	v_mov_b32_e32 v1, s2
	global_load_ubyte v1, v1, s[0:1] offset:1536
	s_add_u32 s4, s0, s2
	s_mul_hi_u32 s7, s2, 3
	s_mul_i32 s2, s2, 3
	s_addc_u32 s8, s1, 0
	s_add_u32 s6, s4, s2
	s_addc_u32 s7, s8, s7
	s_load_dword s6, s[6:7], 0x740
	s_mov_b32 s3, 0
	s_mov_b32 s5, s3
	s_waitcnt lgkmcnt(0)
	s_ashr_i32 s7, s6, 31
	s_lshl_b64 s[8:9], s[6:7], 17
	s_waitcnt vmcnt(0)
	v_readfirstlane_b32 s2, v1
	s_lshl_b32 s2, s2, 3
	s_load_dwordx2 s[12:13], s[0:1], s2 offset:0x480
	s_load_dwordx2 s[16:17], s[0:1], s2 offset:0x0
	;; [unrolled: 1-line block ×4, first 2 shown]
	s_waitcnt lgkmcnt(0)
	s_and_b32 s2, s16, 7
	s_add_u32 s4, s18, s8
	s_or_b32 s4, s20, s4
	s_and_b32 s4, s4, 7
	s_cmp_lg_u32 s4, 0
	s_cselect_b64 s[14:15], -1, 0
	s_lshl_b64 s[6:7], s[6:7], 16
	s_sub_u32 s10, s12, s6
	s_subb_u32 s11, s13, s7
	s_and_b32 s4, s12, 3
	s_or_b64 s[2:3], s[2:3], s[4:5]
	s_cmp_lg_u64 s[2:3], 0
	s_cselect_b64 s[2:3], -1, 0
	s_or_b64 s[2:3], s[14:15], s[2:3]
	s_andn2_b64 vcc, exec, s[2:3]
	s_mov_b64 s[2:3], -1
	s_cbranch_vccz .LBB10_5
; %bb.1:
	v_mov_b64_e32 v[4:5], 0x10000
	v_cmp_lt_i64_e32 vcc, s[10:11], v[4:5]
	s_and_b64 s[2:3], vcc, exec
	v_mov_b32_e32 v3, 0
	s_cselect_b32 s13, s11, 0
	s_cselect_b32 s12, s10, 0x10000
	v_lshlrev_b32_e32 v2, 2, v0
	v_cmp_gt_i64_e32 vcc, s[12:13], v[2:3]
	s_and_saveexec_b64 s[14:15], vcc
	s_cbranch_execz .LBB10_4
; %bb.2:
	s_load_dword s2, s[0:1], 0xc5c
	v_mov_b32_e32 v1, v3
	s_mov_b32 s23, 0
	v_lshlrev_b32_e32 v2, 3, v0
	v_lshl_add_u64 v[2:3], s[8:9], 0, v[2:3]
	s_waitcnt lgkmcnt(0)
	s_and_b32 s22, s2, 0xffff
	s_lshl_b32 s24, s22, 3
	s_mov_b32 s25, s23
	s_mov_b64 s[26:27], 0
	v_mov_b64_e32 v[4:5], v[0:1]
.LBB10_3:                               ; =>This Inner Loop Header: Depth=1
	v_lshl_add_u64 v[6:7], s[16:17], 0, v[2:3]
	v_lshl_add_u64 v[8:9], s[18:19], 0, v[2:3]
	;; [unrolled: 1-line block ×3, first 2 shown]
	global_load_dwordx2 v[12:13], v[6:7], off
	global_load_dwordx2 v[14:15], v[8:9], off
	;; [unrolled: 1-line block ×3, first 2 shown]
	v_lshl_add_u64 v[4:5], v[4:5], 0, s[22:23]
	v_lshlrev_b64 v[8:9], 2, v[4:5]
	v_cmp_le_i64_e32 vcc, s[12:13], v[8:9]
	s_or_b64 s[26:27], vcc, s[26:27]
	v_lshl_add_u64 v[2:3], v[2:3], 0, s[24:25]
	s_waitcnt vmcnt(2)
	v_cvt_f32_f16_sdwa v9, v13 dst_sel:DWORD dst_unused:UNUSED_PAD src0_sel:WORD_1
	v_cvt_f32_f16_e32 v8, v13
	v_cvt_f32_f16_sdwa v11, v12 dst_sel:DWORD dst_unused:UNUSED_PAD src0_sel:WORD_1
	v_cvt_f32_f16_e32 v10, v12
	s_waitcnt vmcnt(1)
	v_cvt_f32_f16_sdwa v13, v15 dst_sel:DWORD dst_unused:UNUSED_PAD src0_sel:WORD_1
	v_cvt_f32_f16_e32 v12, v15
	v_cvt_f32_f16_sdwa v15, v14 dst_sel:DWORD dst_unused:UNUSED_PAD src0_sel:WORD_1
	v_cvt_f32_f16_e32 v14, v14
	;; [unrolled: 5-line block ×3, first 2 shown]
	v_sub_f32_e32 v16, v14, v10
	v_sub_f32_e32 v17, v15, v11
	;; [unrolled: 1-line block ×4, first 2 shown]
	v_sub_f32_e32 v24, 1.0, v18
	v_sub_f32_e32 v25, 1.0, v19
	;; [unrolled: 1-line block ×4, first 2 shown]
	v_pk_fma_f32 v[8:9], v[22:23], v[20:21], v[8:9]
	v_pk_fma_f32 v[10:11], v[16:17], v[18:19], v[10:11]
	v_xor_b32_e32 v22, 0x80000000, v22
	v_xor_b32_e32 v23, 0x80000000, v23
	;; [unrolled: 1-line block ×4, first 2 shown]
	v_pk_fma_f32 v[12:13], v[22:23], v[26:27], v[12:13]
	v_cmp_lt_f32_e64 vcc, |v20|, 0.5
	v_cmp_lt_f32_e64 s[2:3], |v21|, 0.5
	v_pk_fma_f32 v[14:15], v[16:17], v[24:25], v[14:15]
	v_cmp_lt_f32_e64 s[4:5], |v18|, 0.5
	v_cmp_lt_f32_e64 s[6:7], |v19|, 0.5
	v_cndmask_b32_e64 v9, v13, v9, s[2:3]
	v_cndmask_b32_e64 v10, v14, v10, s[4:5]
	;; [unrolled: 1-line block ×3, first 2 shown]
	v_cndmask_b32_e32 v8, v12, v8, vcc
	v_cvt_pk_f16_f32 v9, v8, v9
	v_cvt_pk_f16_f32 v8, v10, v1
	global_store_dwordx2 v[6:7], v[8:9], off
	s_andn2_b64 exec, exec, s[26:27]
	s_cbranch_execnz .LBB10_3
.LBB10_4:
	s_or_b64 exec, exec, s[14:15]
	s_mov_b64 s[2:3], 0
.LBB10_5:
	s_andn2_b64 vcc, exec, s[2:3]
	s_cbranch_vccnz .LBB10_33
; %bb.6:
	v_cmp_lt_i64_e64 s[2:3], s[10:11], 1
	s_and_b64 vcc, exec, s[2:3]
	s_cbranch_vccnz .LBB10_33
; %bb.7:
	s_load_dword s2, s[0:1], 0xc5c
	v_mov_b64_e32 v[2:3], 0x10000
	v_cmp_lt_i64_e32 vcc, s[10:11], v[2:3]
	s_and_b64 s[0:1], vcc, exec
	s_cselect_b32 s7, s11, 0
	s_cselect_b32 s6, s10, 0x10000
	s_waitcnt lgkmcnt(0)
	s_and_b32 s2, s2, 0xffff
	v_cmp_lt_u64_e32 vcc, s[10:11], v[2:3]
	s_mov_b32 s3, 0
	v_mov_b32_e32 v1, 0
	s_and_b64 s[0:1], vcc, exec
	s_cselect_b32 s11, s11, 0
	s_cselect_b32 s10, s10, 0x10000
	s_lshl_b32 s12, s2, 2
	s_mov_b32 s13, s3
	v_lshlrev_b32_e32 v16, 1, v0
	v_mov_b32_e32 v17, v1
	v_lshl_add_u64 v[24:25], v[0:1], 0, s[2:3]
	s_lshl_b32 s0, s2, 1
	s_mov_b32 s1, s3
	s_mul_i32 s4, s2, 3
	s_mov_b32 s5, s3
	v_mad_u64_u32 v[12:13], s[22:23], s2, 6, v[16:17]
	v_lshl_add_u64 v[20:21], s[12:13], 0, v[16:17]
	v_lshlrev_b32_e32 v30, 1, v24
	v_mov_b32_e32 v31, v1
	v_lshl_add_u64 v[2:3], s[16:17], 0, v[16:17]
	s_lshl_b32 s14, s2, 3
	s_mov_b32 s15, s3
	v_lshl_add_u64 v[4:5], s[18:19], 0, v[16:17]
	v_lshl_add_u64 v[6:7], s[20:21], 0, v[16:17]
	;; [unrolled: 1-line block ×13, first 2 shown]
	s_mov_b64 s[16:17], 0
	v_mov_b32_e32 v33, 1.0
	s_branch .LBB10_9
.LBB10_8:                               ;   in Loop: Header=BB10_9 Depth=1
	s_or_b64 exec, exec, s[0:1]
	s_add_u32 s16, s16, s12
	s_addc_u32 s17, s17, 0
	v_mov_b64_e32 v[34:35], s[6:7]
	v_cmp_ge_i64_e32 vcc, s[16:17], v[34:35]
	v_lshl_add_u64 v[2:3], v[2:3], 0, s[14:15]
	v_lshl_add_u64 v[4:5], v[4:5], 0, s[14:15]
	;; [unrolled: 1-line block ×12, first 2 shown]
	s_cbranch_vccnz .LBB10_33
.LBB10_9:                               ; =>This Inner Loop Header: Depth=1
	v_lshl_add_u64 v[34:35], v[0:1], 0, s[16:17]
	v_cmp_gt_u64_e32 vcc, s[10:11], v[34:35]
	v_mov_b32_e32 v32, 0
	v_mov_b32_e32 v34, 0
	s_and_saveexec_b64 s[0:1], vcc
	s_cbranch_execz .LBB10_11
; %bb.10:                               ;   in Loop: Header=BB10_9 Depth=1
	v_lshl_add_u64 v[36:37], v[2:3], 0, s[8:9]
	v_lshl_add_u64 v[34:35], v[4:5], 0, s[8:9]
	global_load_ushort v32, v[36:37], off
	global_load_ushort v38, v[34:35], off
	s_waitcnt vmcnt(1)
	v_cvt_f32_f16_e32 v34, v32
	s_waitcnt vmcnt(0)
	v_cvt_f32_f16_e32 v32, v38
.LBB10_11:                              ;   in Loop: Header=BB10_9 Depth=1
	s_or_b64 exec, exec, s[0:1]
	v_mov_b32_e32 v36, 0
	v_mov_b32_e32 v35, 0
	s_and_saveexec_b64 s[0:1], vcc
	s_cbranch_execz .LBB10_13
; %bb.12:                               ;   in Loop: Header=BB10_9 Depth=1
	v_lshl_add_u64 v[38:39], v[6:7], 0, s[8:9]
	global_load_ushort v35, v[38:39], off
	s_waitcnt vmcnt(0)
	v_cvt_f32_f16_e32 v35, v35
.LBB10_13:                              ;   in Loop: Header=BB10_9 Depth=1
	s_or_b64 exec, exec, s[0:1]
	v_lshl_add_u64 v[38:39], v[24:25], 0, s[16:17]
	v_cmp_gt_u64_e64 s[0:1], s[10:11], v[38:39]
	v_mov_b32_e32 v37, 0
	s_and_saveexec_b64 s[2:3], s[0:1]
	s_cbranch_execz .LBB10_15
; %bb.14:                               ;   in Loop: Header=BB10_9 Depth=1
	v_lshl_add_u64 v[38:39], v[26:27], 0, s[8:9]
	v_lshl_add_u64 v[36:37], v[28:29], 0, s[8:9]
	global_load_ushort v40, v[38:39], off
	global_load_ushort v41, v[36:37], off
	s_waitcnt vmcnt(1)
	v_cvt_f32_f16_e32 v37, v40
	s_waitcnt vmcnt(0)
	v_cvt_f32_f16_e32 v36, v41
.LBB10_15:                              ;   in Loop: Header=BB10_9 Depth=1
	s_or_b64 exec, exec, s[2:3]
	v_mov_b32_e32 v38, 0
	v_mov_b32_e32 v39, 0
	s_and_saveexec_b64 s[2:3], s[0:1]
	s_cbranch_execz .LBB10_17
; %bb.16:                               ;   in Loop: Header=BB10_9 Depth=1
	v_lshl_add_u64 v[40:41], v[30:31], 0, s[8:9]
	global_load_ushort v39, v[40:41], off
	s_waitcnt vmcnt(0)
	v_cvt_f32_f16_e32 v39, v39
.LBB10_17:                              ;   in Loop: Header=BB10_9 Depth=1
	s_or_b64 exec, exec, s[2:3]
	v_lshl_add_u64 v[40:41], v[22:23], 0, s[16:17]
	v_cmp_gt_u64_e64 s[2:3], s[10:11], v[40:41]
	v_mov_b32_e32 v40, 0
	s_and_saveexec_b64 s[4:5], s[2:3]
	s_cbranch_execz .LBB10_19
; %bb.18:                               ;   in Loop: Header=BB10_9 Depth=1
	v_lshl_add_u64 v[42:43], v[16:17], 0, s[8:9]
	v_lshl_add_u64 v[40:41], v[18:19], 0, s[8:9]
	global_load_ushort v38, v[42:43], off
	global_load_ushort v44, v[40:41], off
	s_waitcnt vmcnt(1)
	v_cvt_f32_f16_e32 v40, v38
	s_waitcnt vmcnt(0)
	v_cvt_f32_f16_e32 v38, v44
.LBB10_19:                              ;   in Loop: Header=BB10_9 Depth=1
	s_or_b64 exec, exec, s[4:5]
	v_mov_b32_e32 v41, 0
	v_mov_b32_e32 v42, 0
	s_and_saveexec_b64 s[4:5], s[2:3]
	s_cbranch_execz .LBB10_21
; %bb.20:                               ;   in Loop: Header=BB10_9 Depth=1
	v_lshl_add_u64 v[42:43], v[20:21], 0, s[8:9]
	global_load_ushort v42, v[42:43], off
	s_waitcnt vmcnt(0)
	v_cvt_f32_f16_e32 v42, v42
.LBB10_21:                              ;   in Loop: Header=BB10_9 Depth=1
	s_or_b64 exec, exec, s[4:5]
	v_lshl_add_u64 v[44:45], v[14:15], 0, s[16:17]
	v_cmp_gt_u64_e64 s[4:5], s[10:11], v[44:45]
	v_mov_b32_e32 v43, 0
	s_and_saveexec_b64 s[18:19], s[4:5]
	s_cbranch_execnz .LBB10_27
; %bb.22:                               ;   in Loop: Header=BB10_9 Depth=1
	s_or_b64 exec, exec, s[18:19]
	v_mov_b32_e32 v44, 0
	s_and_saveexec_b64 s[18:19], s[4:5]
	s_cbranch_execnz .LBB10_28
.LBB10_23:                              ;   in Loop: Header=BB10_9 Depth=1
	s_or_b64 exec, exec, s[18:19]
	s_and_saveexec_b64 s[18:19], vcc
	s_cbranch_execnz .LBB10_29
.LBB10_24:                              ;   in Loop: Header=BB10_9 Depth=1
	s_or_b64 exec, exec, s[18:19]
	s_and_saveexec_b64 s[18:19], s[0:1]
	s_cbranch_execnz .LBB10_30
.LBB10_25:                              ;   in Loop: Header=BB10_9 Depth=1
	s_or_b64 exec, exec, s[18:19]
	s_and_saveexec_b64 s[0:1], s[2:3]
	s_cbranch_execnz .LBB10_31
.LBB10_26:                              ;   in Loop: Header=BB10_9 Depth=1
	s_or_b64 exec, exec, s[0:1]
	s_and_saveexec_b64 s[0:1], s[4:5]
	s_cbranch_execz .LBB10_8
	s_branch .LBB10_32
.LBB10_27:                              ;   in Loop: Header=BB10_9 Depth=1
	v_lshl_add_u64 v[46:47], v[8:9], 0, s[8:9]
	v_lshl_add_u64 v[44:45], v[10:11], 0, s[8:9]
	global_load_ushort v41, v[46:47], off
	global_load_ushort v48, v[44:45], off
	s_waitcnt vmcnt(1)
	v_cvt_f32_f16_e32 v43, v41
	s_waitcnt vmcnt(0)
	v_cvt_f32_f16_e32 v41, v48
	s_or_b64 exec, exec, s[18:19]
	v_mov_b32_e32 v44, 0
	s_and_saveexec_b64 s[18:19], s[4:5]
	s_cbranch_execz .LBB10_23
.LBB10_28:                              ;   in Loop: Header=BB10_9 Depth=1
	v_lshl_add_u64 v[44:45], v[12:13], 0, s[8:9]
	global_load_ushort v44, v[44:45], off
	s_waitcnt vmcnt(0)
	v_cvt_f32_f16_e32 v44, v44
	s_or_b64 exec, exec, s[18:19]
	s_and_saveexec_b64 s[18:19], vcc
	s_cbranch_execz .LBB10_24
.LBB10_29:                              ;   in Loop: Header=BB10_9 Depth=1
	v_pk_add_f32 v[46:47], v[32:33], v[34:35] neg_lo:[0,1] neg_hi:[0,1]
	v_cmp_lt_f32_e64 vcc, |v35|, 0.5
	v_fmac_f32_e32 v34, v46, v35
	v_fma_f32 v32, -v46, v47, v32
	v_cndmask_b32_e32 v32, v32, v34, vcc
	v_cvt_f16_f32_e32 v32, v32
	v_lshl_add_u64 v[34:35], v[2:3], 0, s[8:9]
	global_store_short v[34:35], v32, off
	s_or_b64 exec, exec, s[18:19]
	s_and_saveexec_b64 s[18:19], s[0:1]
	s_cbranch_execz .LBB10_25
.LBB10_30:                              ;   in Loop: Header=BB10_9 Depth=1
	v_sub_f32_e32 v32, v36, v37
	v_sub_f32_e32 v34, 1.0, v39
	v_fmac_f32_e32 v37, v32, v39
	v_fma_f32 v32, -v32, v34, v36
	v_cmp_lt_f32_e64 vcc, |v39|, 0.5
	v_lshl_add_u64 v[34:35], v[26:27], 0, s[8:9]
	s_nop 0
	v_cndmask_b32_e32 v32, v32, v37, vcc
	v_cvt_f16_f32_e32 v32, v32
	global_store_short v[34:35], v32, off
	s_or_b64 exec, exec, s[18:19]
	s_and_saveexec_b64 s[0:1], s[2:3]
	s_cbranch_execz .LBB10_26
.LBB10_31:                              ;   in Loop: Header=BB10_9 Depth=1
	v_sub_f32_e32 v32, v38, v40
	v_sub_f32_e32 v34, 1.0, v42
	v_fmac_f32_e32 v40, v32, v42
	v_fma_f32 v32, -v32, v34, v38
	v_cmp_lt_f32_e64 vcc, |v42|, 0.5
	v_lshl_add_u64 v[34:35], v[16:17], 0, s[8:9]
	s_nop 0
	v_cndmask_b32_e32 v32, v32, v40, vcc
	v_cvt_f16_f32_e32 v32, v32
	global_store_short v[34:35], v32, off
	s_or_b64 exec, exec, s[0:1]
	s_and_saveexec_b64 s[0:1], s[4:5]
	s_cbranch_execz .LBB10_8
.LBB10_32:                              ;   in Loop: Header=BB10_9 Depth=1
	v_sub_f32_e32 v32, v41, v43
	v_sub_f32_e32 v34, 1.0, v44
	v_fmac_f32_e32 v43, v32, v44
	v_fma_f32 v32, -v32, v34, v41
	v_cmp_lt_f32_e64 vcc, |v44|, 0.5
	v_lshl_add_u64 v[34:35], v[8:9], 0, s[8:9]
	s_nop 0
	v_cndmask_b32_e32 v32, v32, v43, vcc
	v_cvt_f16_f32_e32 v32, v32
	global_store_short v[34:35], v32, off
	s_branch .LBB10_8
.LBB10_33:
	s_endpgm
	.section	.rodata,"a",@progbits
	.p2align	6, 0x0
	.amdhsa_kernel _ZN2at6native12_GLOBAL__N_125multi_tensor_apply_kernelINS1_18TensorListMetadataILi3EEENS1_20TernaryOpListFunctorIN3c104HalfELi3ELi3ELi0EEEJNS0_11LerpFunctorIfEEEEEvT_T0_DpT1_
		.amdhsa_group_segment_fixed_size 0
		.amdhsa_private_segment_fixed_size 0
		.amdhsa_kernarg_size 3408
		.amdhsa_user_sgpr_count 2
		.amdhsa_user_sgpr_dispatch_ptr 0
		.amdhsa_user_sgpr_queue_ptr 0
		.amdhsa_user_sgpr_kernarg_segment_ptr 1
		.amdhsa_user_sgpr_dispatch_id 0
		.amdhsa_user_sgpr_kernarg_preload_length 0
		.amdhsa_user_sgpr_kernarg_preload_offset 0
		.amdhsa_user_sgpr_private_segment_size 0
		.amdhsa_uses_dynamic_stack 0
		.amdhsa_enable_private_segment 0
		.amdhsa_system_sgpr_workgroup_id_x 1
		.amdhsa_system_sgpr_workgroup_id_y 0
		.amdhsa_system_sgpr_workgroup_id_z 0
		.amdhsa_system_sgpr_workgroup_info 0
		.amdhsa_system_vgpr_workitem_id 0
		.amdhsa_next_free_vgpr 49
		.amdhsa_next_free_sgpr 28
		.amdhsa_accum_offset 52
		.amdhsa_reserve_vcc 1
		.amdhsa_float_round_mode_32 0
		.amdhsa_float_round_mode_16_64 0
		.amdhsa_float_denorm_mode_32 3
		.amdhsa_float_denorm_mode_16_64 3
		.amdhsa_dx10_clamp 1
		.amdhsa_ieee_mode 1
		.amdhsa_fp16_overflow 0
		.amdhsa_tg_split 0
		.amdhsa_exception_fp_ieee_invalid_op 0
		.amdhsa_exception_fp_denorm_src 0
		.amdhsa_exception_fp_ieee_div_zero 0
		.amdhsa_exception_fp_ieee_overflow 0
		.amdhsa_exception_fp_ieee_underflow 0
		.amdhsa_exception_fp_ieee_inexact 0
		.amdhsa_exception_int_div_zero 0
	.end_amdhsa_kernel
	.section	.text._ZN2at6native12_GLOBAL__N_125multi_tensor_apply_kernelINS1_18TensorListMetadataILi3EEENS1_20TernaryOpListFunctorIN3c104HalfELi3ELi3ELi0EEEJNS0_11LerpFunctorIfEEEEEvT_T0_DpT1_,"axG",@progbits,_ZN2at6native12_GLOBAL__N_125multi_tensor_apply_kernelINS1_18TensorListMetadataILi3EEENS1_20TernaryOpListFunctorIN3c104HalfELi3ELi3ELi0EEEJNS0_11LerpFunctorIfEEEEEvT_T0_DpT1_,comdat
.Lfunc_end10:
	.size	_ZN2at6native12_GLOBAL__N_125multi_tensor_apply_kernelINS1_18TensorListMetadataILi3EEENS1_20TernaryOpListFunctorIN3c104HalfELi3ELi3ELi0EEEJNS0_11LerpFunctorIfEEEEEvT_T0_DpT1_, .Lfunc_end10-_ZN2at6native12_GLOBAL__N_125multi_tensor_apply_kernelINS1_18TensorListMetadataILi3EEENS1_20TernaryOpListFunctorIN3c104HalfELi3ELi3ELi0EEEJNS0_11LerpFunctorIfEEEEEvT_T0_DpT1_
                                        ; -- End function
	.set _ZN2at6native12_GLOBAL__N_125multi_tensor_apply_kernelINS1_18TensorListMetadataILi3EEENS1_20TernaryOpListFunctorIN3c104HalfELi3ELi3ELi0EEEJNS0_11LerpFunctorIfEEEEEvT_T0_DpT1_.num_vgpr, 49
	.set _ZN2at6native12_GLOBAL__N_125multi_tensor_apply_kernelINS1_18TensorListMetadataILi3EEENS1_20TernaryOpListFunctorIN3c104HalfELi3ELi3ELi0EEEJNS0_11LerpFunctorIfEEEEEvT_T0_DpT1_.num_agpr, 0
	.set _ZN2at6native12_GLOBAL__N_125multi_tensor_apply_kernelINS1_18TensorListMetadataILi3EEENS1_20TernaryOpListFunctorIN3c104HalfELi3ELi3ELi0EEEJNS0_11LerpFunctorIfEEEEEvT_T0_DpT1_.numbered_sgpr, 28
	.set _ZN2at6native12_GLOBAL__N_125multi_tensor_apply_kernelINS1_18TensorListMetadataILi3EEENS1_20TernaryOpListFunctorIN3c104HalfELi3ELi3ELi0EEEJNS0_11LerpFunctorIfEEEEEvT_T0_DpT1_.num_named_barrier, 0
	.set _ZN2at6native12_GLOBAL__N_125multi_tensor_apply_kernelINS1_18TensorListMetadataILi3EEENS1_20TernaryOpListFunctorIN3c104HalfELi3ELi3ELi0EEEJNS0_11LerpFunctorIfEEEEEvT_T0_DpT1_.private_seg_size, 0
	.set _ZN2at6native12_GLOBAL__N_125multi_tensor_apply_kernelINS1_18TensorListMetadataILi3EEENS1_20TernaryOpListFunctorIN3c104HalfELi3ELi3ELi0EEEJNS0_11LerpFunctorIfEEEEEvT_T0_DpT1_.uses_vcc, 1
	.set _ZN2at6native12_GLOBAL__N_125multi_tensor_apply_kernelINS1_18TensorListMetadataILi3EEENS1_20TernaryOpListFunctorIN3c104HalfELi3ELi3ELi0EEEJNS0_11LerpFunctorIfEEEEEvT_T0_DpT1_.uses_flat_scratch, 0
	.set _ZN2at6native12_GLOBAL__N_125multi_tensor_apply_kernelINS1_18TensorListMetadataILi3EEENS1_20TernaryOpListFunctorIN3c104HalfELi3ELi3ELi0EEEJNS0_11LerpFunctorIfEEEEEvT_T0_DpT1_.has_dyn_sized_stack, 0
	.set _ZN2at6native12_GLOBAL__N_125multi_tensor_apply_kernelINS1_18TensorListMetadataILi3EEENS1_20TernaryOpListFunctorIN3c104HalfELi3ELi3ELi0EEEJNS0_11LerpFunctorIfEEEEEvT_T0_DpT1_.has_recursion, 0
	.set _ZN2at6native12_GLOBAL__N_125multi_tensor_apply_kernelINS1_18TensorListMetadataILi3EEENS1_20TernaryOpListFunctorIN3c104HalfELi3ELi3ELi0EEEJNS0_11LerpFunctorIfEEEEEvT_T0_DpT1_.has_indirect_call, 0
	.section	.AMDGPU.csdata,"",@progbits
; Kernel info:
; codeLenInByte = 1892
; TotalNumSgprs: 34
; NumVgprs: 49
; NumAgprs: 0
; TotalNumVgprs: 49
; ScratchSize: 0
; MemoryBound: 0
; FloatMode: 240
; IeeeMode: 1
; LDSByteSize: 0 bytes/workgroup (compile time only)
; SGPRBlocks: 4
; VGPRBlocks: 6
; NumSGPRsForWavesPerEU: 34
; NumVGPRsForWavesPerEU: 49
; AccumOffset: 52
; Occupancy: 8
; WaveLimiterHint : 0
; COMPUTE_PGM_RSRC2:SCRATCH_EN: 0
; COMPUTE_PGM_RSRC2:USER_SGPR: 2
; COMPUTE_PGM_RSRC2:TRAP_HANDLER: 0
; COMPUTE_PGM_RSRC2:TGID_X_EN: 1
; COMPUTE_PGM_RSRC2:TGID_Y_EN: 0
; COMPUTE_PGM_RSRC2:TGID_Z_EN: 0
; COMPUTE_PGM_RSRC2:TIDIG_COMP_CNT: 0
; COMPUTE_PGM_RSRC3_GFX90A:ACCUM_OFFSET: 12
; COMPUTE_PGM_RSRC3_GFX90A:TG_SPLIT: 0
	.section	.text._ZN2at6native12_GLOBAL__N_125multi_tensor_apply_kernelINS1_18TensorListMetadataILi3EEENS1_20TernaryOpListFunctorIN3c108BFloat16ELi3ELi3ELi0EEEJNS0_11LerpFunctorIfEEEEEvT_T0_DpT1_,"axG",@progbits,_ZN2at6native12_GLOBAL__N_125multi_tensor_apply_kernelINS1_18TensorListMetadataILi3EEENS1_20TernaryOpListFunctorIN3c108BFloat16ELi3ELi3ELi0EEEJNS0_11LerpFunctorIfEEEEEvT_T0_DpT1_,comdat
	.globl	_ZN2at6native12_GLOBAL__N_125multi_tensor_apply_kernelINS1_18TensorListMetadataILi3EEENS1_20TernaryOpListFunctorIN3c108BFloat16ELi3ELi3ELi0EEEJNS0_11LerpFunctorIfEEEEEvT_T0_DpT1_ ; -- Begin function _ZN2at6native12_GLOBAL__N_125multi_tensor_apply_kernelINS1_18TensorListMetadataILi3EEENS1_20TernaryOpListFunctorIN3c108BFloat16ELi3ELi3ELi0EEEJNS0_11LerpFunctorIfEEEEEvT_T0_DpT1_
	.p2align	8
	.type	_ZN2at6native12_GLOBAL__N_125multi_tensor_apply_kernelINS1_18TensorListMetadataILi3EEENS1_20TernaryOpListFunctorIN3c108BFloat16ELi3ELi3ELi0EEEJNS0_11LerpFunctorIfEEEEEvT_T0_DpT1_,@function
_ZN2at6native12_GLOBAL__N_125multi_tensor_apply_kernelINS1_18TensorListMetadataILi3EEENS1_20TernaryOpListFunctorIN3c108BFloat16ELi3ELi3ELi0EEEJNS0_11LerpFunctorIfEEEEEvT_T0_DpT1_: ; @_ZN2at6native12_GLOBAL__N_125multi_tensor_apply_kernelINS1_18TensorListMetadataILi3EEENS1_20TernaryOpListFunctorIN3c108BFloat16ELi3ELi3ELi0EEEJNS0_11LerpFunctorIfEEEEEvT_T0_DpT1_
; %bb.0:
	v_mov_b32_e32 v1, s2
	global_load_ubyte v1, v1, s[0:1] offset:1536
	s_add_u32 s4, s0, s2
	s_mul_hi_u32 s7, s2, 3
	s_mul_i32 s2, s2, 3
	s_addc_u32 s8, s1, 0
	s_add_u32 s6, s4, s2
	s_addc_u32 s7, s8, s7
	s_load_dword s8, s[6:7], 0x740
	s_mov_b32 s3, 0
	s_mov_b32 s5, s3
	s_waitcnt lgkmcnt(0)
	s_ashr_i32 s9, s8, 31
	s_lshl_b64 s[6:7], s[8:9], 17
	s_waitcnt vmcnt(0)
	v_readfirstlane_b32 s2, v1
	s_lshl_b32 s2, s2, 3
	s_load_dwordx2 s[10:11], s[0:1], s2 offset:0x480
	s_load_dwordx2 s[16:17], s[0:1], s2 offset:0x0
	;; [unrolled: 1-line block ×4, first 2 shown]
	s_waitcnt lgkmcnt(0)
	s_and_b32 s2, s16, 7
	s_add_u32 s4, s18, s6
	s_or_b32 s4, s20, s4
	s_and_b32 s4, s4, 7
	s_cmp_lg_u32 s4, 0
	s_cselect_b64 s[14:15], -1, 0
	s_lshl_b64 s[8:9], s[8:9], 16
	s_sub_u32 s12, s10, s8
	s_subb_u32 s13, s11, s9
	s_and_b32 s4, s10, 3
	s_or_b64 s[2:3], s[2:3], s[4:5]
	s_cmp_lg_u64 s[2:3], 0
	s_cselect_b64 s[2:3], -1, 0
	s_or_b64 s[2:3], s[14:15], s[2:3]
	s_andn2_b64 vcc, exec, s[2:3]
	s_mov_b64 s[2:3], -1
	s_cbranch_vccz .LBB11_5
; %bb.1:
	v_mov_b64_e32 v[4:5], 0x10000
	v_cmp_lt_i64_e32 vcc, s[12:13], v[4:5]
	s_and_b64 s[2:3], vcc, exec
	v_mov_b32_e32 v3, 0
	s_cselect_b32 s9, s13, 0
	s_cselect_b32 s8, s12, 0x10000
	v_lshlrev_b32_e32 v2, 2, v0
	v_cmp_gt_i64_e32 vcc, s[8:9], v[2:3]
	s_and_saveexec_b64 s[10:11], vcc
	s_cbranch_execz .LBB11_4
; %bb.2:
	s_load_dword s2, s[0:1], 0xc5c
	v_mov_b32_e32 v1, v3
	s_mov_b32 s15, 0
	v_lshlrev_b32_e32 v2, 3, v0
	v_lshl_add_u64 v[2:3], s[6:7], 0, v[2:3]
	s_waitcnt lgkmcnt(0)
	s_and_b32 s14, s2, 0xffff
	s_lshl_b32 s22, s14, 3
	s_mov_b32 s23, s15
	s_mov_b64 s[24:25], 0
	s_movk_i32 s26, 0x7fff
	v_mov_b32_e32 v6, 0x7fc0
	v_mov_b32_e32 v7, 0x7fc00000
	v_mov_b64_e32 v[4:5], v[0:1]
.LBB11_3:                               ; =>This Inner Loop Header: Depth=1
	v_lshl_add_u64 v[8:9], s[16:17], 0, v[2:3]
	v_lshl_add_u64 v[10:11], s[18:19], 0, v[2:3]
	;; [unrolled: 1-line block ×3, first 2 shown]
	global_load_dwordx2 v[14:15], v[8:9], off
	global_load_dwordx2 v[16:17], v[10:11], off
	;; [unrolled: 1-line block ×3, first 2 shown]
	v_lshl_add_u64 v[4:5], v[4:5], 0, s[14:15]
	v_lshlrev_b64 v[10:11], 2, v[4:5]
	v_cmp_le_i64_e32 vcc, s[8:9], v[10:11]
	s_or_b64 s[24:25], vcc, s[24:25]
	v_lshl_add_u64 v[2:3], v[2:3], 0, s[22:23]
	s_waitcnt vmcnt(2)
	v_lshlrev_b32_e32 v1, 16, v14
	s_waitcnt vmcnt(1)
	v_lshlrev_b32_e32 v10, 16, v16
	;; [unrolled: 2-line block ×3, first 2 shown]
	v_and_b32_e32 v12, 0xffff0000, v14
	v_and_b32_e32 v13, 0xffff0000, v16
	;; [unrolled: 1-line block ×3, first 2 shown]
	v_alignbit_b32 v14, v15, v14, 16
	v_alignbit_b32 v16, v17, v16, 16
	;; [unrolled: 1-line block ×3, first 2 shown]
	v_and_b32_e32 v15, 0xffff0000, v15
	v_and_b32_e32 v17, 0xffff0000, v17
	v_and_b32_e32 v19, 0xffff0000, v19
	v_sub_f32_e32 v21, v10, v1
	v_sub_f32_e32 v22, 1.0, v11
	v_sub_f32_e32 v23, v13, v12
	v_sub_f32_e32 v24, 1.0, v20
	v_and_b32_e32 v14, 0xffff0000, v14
	v_and_b32_e32 v16, 0xffff0000, v16
	;; [unrolled: 1-line block ×3, first 2 shown]
	v_sub_f32_e32 v25, v17, v15
	v_sub_f32_e32 v26, 1.0, v19
	v_fmac_f32_e32 v1, v21, v11
	v_fma_f32 v10, -v21, v22, v10
	v_fmac_f32_e32 v12, v23, v20
	v_fma_f32 v13, -v23, v24, v13
	v_cmp_lt_f32_e64 vcc, |v20|, 0.5
	v_sub_f32_e32 v20, v16, v14
	v_sub_f32_e32 v21, 1.0, v18
	v_cmp_lt_f32_e64 s[4:5], |v11|, 0.5
	v_fmac_f32_e32 v15, v25, v19
	v_fma_f32 v17, -v25, v26, v17
	v_cmp_lt_f32_e64 s[2:3], |v19|, 0.5
	v_cndmask_b32_e64 v1, v10, v1, s[4:5]
	v_cndmask_b32_e32 v10, v13, v12, vcc
	v_fmac_f32_e32 v14, v20, v18
	v_fma_f32 v11, -v20, v21, v16
	v_cmp_lt_f32_e64 vcc, |v18|, 0.5
	v_cndmask_b32_e64 v12, v17, v15, s[2:3]
	v_bfe_u32 v13, v1, 16, 1
	v_bfe_u32 v15, v10, 16, 1
	v_cndmask_b32_e32 v11, v11, v14, vcc
	v_bfe_u32 v14, v12, 16, 1
	v_add3_u32 v13, v1, v13, s26
	v_add3_u32 v15, v10, v15, s26
	v_bfe_u32 v16, v11, 16, 1
	v_add3_u32 v14, v12, v14, s26
	v_lshrrev_b32_e32 v13, 16, v13
	v_and_b32_e32 v15, 0xffff0000, v15
	v_cmp_o_f32_e32 vcc, v10, v10
	v_add3_u32 v10, v11, v16, s26
	v_cmp_o_f32_e64 s[4:5], v1, v1
	v_and_b32_e32 v14, 0xffff0000, v14
	v_cmp_o_f32_e64 s[2:3], v12, v12
	v_cndmask_b32_e64 v1, v6, v13, s[4:5]
	v_cndmask_b32_e32 v12, v7, v15, vcc
	v_lshrrev_b32_e32 v10, 16, v10
	v_cmp_o_f32_e32 vcc, v11, v11
	v_cndmask_b32_e64 v11, v7, v14, s[2:3]
	v_or_b32_e32 v1, v1, v12
	v_cndmask_b32_e32 v10, v6, v10, vcc
	v_or3_b32 v11, 0, v10, v11
	v_or3_b32 v10, v1, 0, 0
	global_store_dwordx2 v[8:9], v[10:11], off
	s_andn2_b64 exec, exec, s[24:25]
	s_cbranch_execnz .LBB11_3
.LBB11_4:
	s_or_b64 exec, exec, s[10:11]
	s_mov_b64 s[2:3], 0
.LBB11_5:
	s_andn2_b64 vcc, exec, s[2:3]
	s_cbranch_vccnz .LBB11_33
; %bb.6:
	v_cmp_lt_i64_e64 s[2:3], s[12:13], 1
	s_and_b64 vcc, exec, s[2:3]
	s_cbranch_vccnz .LBB11_33
; %bb.7:
	s_load_dword s0, s[0:1], 0xc5c
	v_mov_b64_e32 v[4:5], 0x10000
	v_cmp_lt_i64_e32 vcc, s[12:13], v[4:5]
	s_and_b64 s[2:3], vcc, exec
	s_mov_b32 s9, 0
	s_cselect_b32 s11, s13, 0
	s_cselect_b32 s10, s12, 0x10000
	v_mov_b32_e32 v2, 0
	s_waitcnt lgkmcnt(0)
	s_and_b32 s0, s0, 0xffff
	v_cmp_lt_u64_e32 vcc, s[12:13], v[4:5]
	v_mov_b32_e32 v1, v2
	s_and_b64 s[2:3], vcc, exec
	s_mov_b32 s1, s9
	s_cselect_b32 s13, s13, 0
	s_cselect_b32 s12, s12, 0x10000
	s_lshl_b32 s8, s0, 2
	v_lshlrev_b32_e32 v18, 1, v0
	v_mov_b32_e32 v19, v2
	v_lshl_add_u64 v[26:27], v[0:1], 0, s[0:1]
	s_lshl_b32 s2, s0, 1
	s_mov_b32 s3, s9
	s_mul_i32 s4, s0, 3
	s_mov_b32 s5, s9
	v_mad_u64_u32 v[14:15], s[22:23], s0, 6, v[18:19]
	v_lshl_add_u64 v[22:23], s[8:9], 0, v[18:19]
	v_lshlrev_b32_e32 v32, 1, v26
	v_mov_b32_e32 v33, v2
	v_lshl_add_u64 v[4:5], s[16:17], 0, v[18:19]
	s_lshl_b32 s14, s0, 3
	s_mov_b32 s15, s9
	v_lshl_add_u64 v[6:7], s[18:19], 0, v[18:19]
	v_lshl_add_u64 v[8:9], s[20:21], 0, v[18:19]
	;; [unrolled: 1-line block ×13, first 2 shown]
	s_mov_b64 s[16:17], 0
	v_mov_b32_e32 v35, 1.0
	s_movk_i32 s20, 0x7fff
	v_mov_b32_e32 v42, 0x7fc0
	s_branch .LBB11_9
.LBB11_8:                               ;   in Loop: Header=BB11_9 Depth=1
	s_or_b64 exec, exec, s[0:1]
	s_add_u32 s16, s16, s8
	s_addc_u32 s17, s17, 0
	v_mov_b64_e32 v[36:37], s[10:11]
	v_cmp_ge_i64_e32 vcc, s[16:17], v[36:37]
	v_lshl_add_u64 v[4:5], v[4:5], 0, s[14:15]
	v_lshl_add_u64 v[6:7], v[6:7], 0, s[14:15]
	;; [unrolled: 1-line block ×12, first 2 shown]
	s_cbranch_vccnz .LBB11_33
.LBB11_9:                               ; =>This Inner Loop Header: Depth=1
	v_lshl_add_u64 v[36:37], v[0:1], 0, s[16:17]
	v_cmp_gt_u64_e32 vcc, s[12:13], v[36:37]
	v_mov_b64_e32 v[36:37], 0
	v_mov_b64_e32 v[40:41], 0
	;; [unrolled: 1-line block ×3, first 2 shown]
	s_and_saveexec_b64 s[0:1], vcc
	s_cbranch_execz .LBB11_11
; %bb.10:                               ;   in Loop: Header=BB11_9 Depth=1
	v_lshl_add_u64 v[40:41], v[4:5], 0, s[6:7]
	v_lshl_add_u64 v[38:39], v[6:7], 0, s[6:7]
	global_load_ushort v3, v[40:41], off
	global_load_ushort v34, v[38:39], off
	v_mov_b32_e32 v39, s9
	v_mov_b32_e32 v41, s9
	s_waitcnt vmcnt(1)
	v_and_b32_e32 v38, 0xffff, v3
	s_waitcnt vmcnt(0)
	v_and_b32_e32 v40, 0xffff, v34
.LBB11_11:                              ;   in Loop: Header=BB11_9 Depth=1
	s_or_b64 exec, exec, s[0:1]
	s_and_saveexec_b64 s[0:1], vcc
	s_cbranch_execz .LBB11_13
; %bb.12:                               ;   in Loop: Header=BB11_9 Depth=1
	v_lshl_add_u64 v[36:37], v[8:9], 0, s[6:7]
	global_load_ushort v3, v[36:37], off
	v_mov_b32_e32 v37, s9
	s_waitcnt vmcnt(0)
	v_and_b32_e32 v36, 0xffff, v3
.LBB11_13:                              ;   in Loop: Header=BB11_9 Depth=1
	s_or_b64 exec, exec, s[0:1]
	v_lshl_add_u64 v[44:45], v[26:27], 0, s[16:17]
	v_cmp_gt_u64_e64 s[0:1], s[12:13], v[44:45]
	s_and_saveexec_b64 s[2:3], s[0:1]
	s_cbranch_execz .LBB11_15
; %bb.14:                               ;   in Loop: Header=BB11_9 Depth=1
	v_lshl_add_u64 v[44:45], v[28:29], 0, s[6:7]
	global_load_ushort v3, v[44:45], off
	v_lshl_add_u64 v[44:45], v[30:31], 0, s[6:7]
	global_load_ushort v34, v[44:45], off
	s_waitcnt vmcnt(1)
	v_lshl_or_b32 v38, v3, 16, v38
	s_waitcnt vmcnt(0)
	v_lshl_or_b32 v40, v34, 16, v40
.LBB11_15:                              ;   in Loop: Header=BB11_9 Depth=1
	s_or_b64 exec, exec, s[2:3]
	s_and_saveexec_b64 s[2:3], s[0:1]
	s_cbranch_execz .LBB11_17
; %bb.16:                               ;   in Loop: Header=BB11_9 Depth=1
	v_lshl_add_u64 v[44:45], v[32:33], 0, s[6:7]
	global_load_ushort v3, v[44:45], off
	s_waitcnt vmcnt(0)
	v_lshl_or_b32 v36, v3, 16, v36
.LBB11_17:                              ;   in Loop: Header=BB11_9 Depth=1
	s_or_b64 exec, exec, s[2:3]
	v_lshl_add_u64 v[44:45], v[24:25], 0, s[16:17]
	v_cmp_gt_u64_e64 s[2:3], s[12:13], v[44:45]
	v_cmp_le_u64_e64 s[4:5], s[12:13], v[44:45]
	s_and_saveexec_b64 s[18:19], s[4:5]
	s_xor_b64 s[4:5], exec, s[18:19]
	s_andn2_saveexec_b64 s[4:5], s[4:5]
	s_cbranch_execz .LBB11_19
; %bb.18:                               ;   in Loop: Header=BB11_9 Depth=1
	v_lshl_add_u64 v[44:45], v[18:19], 0, s[6:7]
	global_load_ushort v3, v[44:45], off
	v_lshl_add_u64 v[44:45], v[20:21], 0, s[6:7]
	global_load_ushort v34, v[44:45], off
	s_waitcnt vmcnt(1)
	v_or_b32_e32 v39, v3, v39
	s_waitcnt vmcnt(0)
	v_or_b32_e32 v41, v34, v41
.LBB11_19:                              ;   in Loop: Header=BB11_9 Depth=1
	s_or_b64 exec, exec, s[4:5]
	s_and_saveexec_b64 s[4:5], s[2:3]
	s_cbranch_execz .LBB11_21
; %bb.20:                               ;   in Loop: Header=BB11_9 Depth=1
	v_lshl_add_u64 v[44:45], v[22:23], 0, s[6:7]
	global_load_ushort v3, v[44:45], off
	s_waitcnt vmcnt(0)
	v_or_b32_e32 v37, v3, v37
.LBB11_21:                              ;   in Loop: Header=BB11_9 Depth=1
	s_or_b64 exec, exec, s[4:5]
	v_lshl_add_u64 v[44:45], v[16:17], 0, s[16:17]
	v_cmp_gt_u64_e64 s[4:5], s[12:13], v[44:45]
	s_and_saveexec_b64 s[18:19], s[4:5]
	s_cbranch_execnz .LBB11_27
; %bb.22:                               ;   in Loop: Header=BB11_9 Depth=1
	s_or_b64 exec, exec, s[18:19]
	s_and_saveexec_b64 s[18:19], s[4:5]
	s_cbranch_execnz .LBB11_28
.LBB11_23:                              ;   in Loop: Header=BB11_9 Depth=1
	s_or_b64 exec, exec, s[18:19]
	s_and_saveexec_b64 s[18:19], vcc
	s_cbranch_execnz .LBB11_29
.LBB11_24:                              ;   in Loop: Header=BB11_9 Depth=1
	s_or_b64 exec, exec, s[18:19]
	s_and_saveexec_b64 s[18:19], s[0:1]
	s_cbranch_execnz .LBB11_30
.LBB11_25:                              ;   in Loop: Header=BB11_9 Depth=1
	s_or_b64 exec, exec, s[18:19]
	s_and_saveexec_b64 s[0:1], s[2:3]
	s_cbranch_execnz .LBB11_31
.LBB11_26:                              ;   in Loop: Header=BB11_9 Depth=1
	s_or_b64 exec, exec, s[0:1]
	s_and_saveexec_b64 s[0:1], s[4:5]
	s_cbranch_execz .LBB11_8
	s_branch .LBB11_32
.LBB11_27:                              ;   in Loop: Header=BB11_9 Depth=1
	v_lshl_add_u64 v[44:45], v[10:11], 0, s[6:7]
	global_load_ushort v3, v[44:45], off
	v_lshl_add_u64 v[44:45], v[12:13], 0, s[6:7]
	global_load_ushort v34, v[44:45], off
	s_waitcnt vmcnt(1)
	v_lshlrev_b32_e32 v43, 16, v3
	v_or_b32_e32 v39, v43, v39
	s_waitcnt vmcnt(0)
	v_lshlrev_b32_e32 v3, 16, v34
	v_lshl_add_u64 v[40:41], v[2:3], 0, v[40:41]
	s_or_b64 exec, exec, s[18:19]
	s_and_saveexec_b64 s[18:19], s[4:5]
	s_cbranch_execz .LBB11_23
.LBB11_28:                              ;   in Loop: Header=BB11_9 Depth=1
	v_lshl_add_u64 v[44:45], v[14:15], 0, s[6:7]
	global_load_ushort v3, v[44:45], off
	s_waitcnt vmcnt(0)
	v_lshlrev_b32_e32 v3, 16, v3
	v_or_b32_e32 v37, v3, v37
	s_or_b64 exec, exec, s[18:19]
	s_and_saveexec_b64 s[18:19], vcc
	s_cbranch_execz .LBB11_24
.LBB11_29:                              ;   in Loop: Header=BB11_9 Depth=1
	v_lshlrev_b32_e32 v45, 16, v36
	v_lshlrev_b32_e32 v44, 16, v38
	;; [unrolled: 1-line block ×3, first 2 shown]
	v_pk_add_f32 v[46:47], v[34:35], v[44:45] neg_lo:[0,1] neg_hi:[0,1]
	v_cmp_lt_f32_e64 vcc, |v45|, 0.5
	v_fmac_f32_e32 v44, v46, v45
	v_fma_f32 v3, -v46, v47, v34
	v_cndmask_b32_e32 v3, v3, v44, vcc
	v_bfe_u32 v34, v3, 16, 1
	v_add3_u32 v34, v3, v34, s20
	v_cmp_o_f32_e32 vcc, v3, v3
	v_lshl_add_u64 v[44:45], v[4:5], 0, s[6:7]
	s_nop 0
	v_cndmask_b32_sdwa v3, v42, v34, vcc dst_sel:DWORD dst_unused:UNUSED_PAD src0_sel:DWORD src1_sel:WORD_1
	global_store_short v[44:45], v3, off
	s_or_b64 exec, exec, s[18:19]
	s_and_saveexec_b64 s[18:19], s[0:1]
	s_cbranch_execz .LBB11_25
.LBB11_30:                              ;   in Loop: Header=BB11_9 Depth=1
	v_and_b32_e32 v34, 0xffff0000, v40
	v_and_b32_e32 v45, 0xffff0000, v36
	;; [unrolled: 1-line block ×3, first 2 shown]
	v_pk_add_f32 v[46:47], v[34:35], v[44:45] neg_lo:[0,1] neg_hi:[0,1]
	v_cmp_lt_f32_e64 vcc, |v45|, 0.5
	v_fmac_f32_e32 v44, v46, v45
	v_fma_f32 v3, -v46, v47, v34
	v_cndmask_b32_e32 v3, v3, v44, vcc
	v_bfe_u32 v34, v3, 16, 1
	v_add3_u32 v34, v3, v34, s20
	v_cmp_o_f32_e32 vcc, v3, v3
	v_lshl_add_u64 v[44:45], v[28:29], 0, s[6:7]
	s_nop 0
	v_cndmask_b32_sdwa v3, v42, v34, vcc dst_sel:DWORD dst_unused:UNUSED_PAD src0_sel:DWORD src1_sel:WORD_1
	global_store_short v[44:45], v3, off
	s_or_b64 exec, exec, s[18:19]
	s_and_saveexec_b64 s[0:1], s[2:3]
	s_cbranch_execz .LBB11_26
.LBB11_31:                              ;   in Loop: Header=BB11_9 Depth=1
	v_alignbit_b32 v3, v41, v40, 16
	v_and_b32_e32 v34, 0xffff0000, v3
	v_alignbit_b32 v3, v37, v36, 16
	v_alignbit_b32 v36, v39, v38, 16
	v_and_b32_e32 v45, 0xffff0000, v3
	v_and_b32_e32 v44, 0xffff0000, v36
	v_pk_add_f32 v[46:47], v[34:35], v[44:45] neg_lo:[0,1] neg_hi:[0,1]
	v_cmp_lt_f32_e64 vcc, |v45|, 0.5
	v_fmac_f32_e32 v44, v46, v45
	v_fma_f32 v3, -v46, v47, v34
	v_cndmask_b32_e32 v3, v3, v44, vcc
	v_bfe_u32 v34, v3, 16, 1
	v_add3_u32 v34, v3, v34, s20
	v_cmp_o_f32_e32 vcc, v3, v3
	v_lshl_add_u64 v[44:45], v[18:19], 0, s[6:7]
	s_nop 0
	v_cndmask_b32_sdwa v3, v42, v34, vcc dst_sel:DWORD dst_unused:UNUSED_PAD src0_sel:DWORD src1_sel:WORD_1
	global_store_short v[44:45], v3, off
	s_or_b64 exec, exec, s[0:1]
	s_and_saveexec_b64 s[0:1], s[4:5]
	s_cbranch_execz .LBB11_8
.LBB11_32:                              ;   in Loop: Header=BB11_9 Depth=1
	v_and_b32_e32 v34, 0xffff0000, v41
	v_and_b32_e32 v37, 0xffff0000, v37
	;; [unrolled: 1-line block ×3, first 2 shown]
	v_pk_add_f32 v[38:39], v[34:35], v[36:37] neg_lo:[0,1] neg_hi:[0,1]
	v_cmp_lt_f32_e64 vcc, |v37|, 0.5
	v_fmac_f32_e32 v36, v38, v37
	v_fma_f32 v3, -v38, v39, v34
	v_cndmask_b32_e32 v3, v3, v36, vcc
	v_bfe_u32 v34, v3, 16, 1
	v_add3_u32 v34, v3, v34, s20
	v_cmp_o_f32_e32 vcc, v3, v3
	v_lshl_add_u64 v[36:37], v[10:11], 0, s[6:7]
	s_nop 0
	v_cndmask_b32_sdwa v3, v42, v34, vcc dst_sel:DWORD dst_unused:UNUSED_PAD src0_sel:DWORD src1_sel:WORD_1
	global_store_short v[36:37], v3, off
	s_branch .LBB11_8
.LBB11_33:
	s_endpgm
	.section	.rodata,"a",@progbits
	.p2align	6, 0x0
	.amdhsa_kernel _ZN2at6native12_GLOBAL__N_125multi_tensor_apply_kernelINS1_18TensorListMetadataILi3EEENS1_20TernaryOpListFunctorIN3c108BFloat16ELi3ELi3ELi0EEEJNS0_11LerpFunctorIfEEEEEvT_T0_DpT1_
		.amdhsa_group_segment_fixed_size 0
		.amdhsa_private_segment_fixed_size 0
		.amdhsa_kernarg_size 3408
		.amdhsa_user_sgpr_count 2
		.amdhsa_user_sgpr_dispatch_ptr 0
		.amdhsa_user_sgpr_queue_ptr 0
		.amdhsa_user_sgpr_kernarg_segment_ptr 1
		.amdhsa_user_sgpr_dispatch_id 0
		.amdhsa_user_sgpr_kernarg_preload_length 0
		.amdhsa_user_sgpr_kernarg_preload_offset 0
		.amdhsa_user_sgpr_private_segment_size 0
		.amdhsa_uses_dynamic_stack 0
		.amdhsa_enable_private_segment 0
		.amdhsa_system_sgpr_workgroup_id_x 1
		.amdhsa_system_sgpr_workgroup_id_y 0
		.amdhsa_system_sgpr_workgroup_id_z 0
		.amdhsa_system_sgpr_workgroup_info 0
		.amdhsa_system_vgpr_workitem_id 0
		.amdhsa_next_free_vgpr 48
		.amdhsa_next_free_sgpr 27
		.amdhsa_accum_offset 48
		.amdhsa_reserve_vcc 1
		.amdhsa_float_round_mode_32 0
		.amdhsa_float_round_mode_16_64 0
		.amdhsa_float_denorm_mode_32 3
		.amdhsa_float_denorm_mode_16_64 3
		.amdhsa_dx10_clamp 1
		.amdhsa_ieee_mode 1
		.amdhsa_fp16_overflow 0
		.amdhsa_tg_split 0
		.amdhsa_exception_fp_ieee_invalid_op 0
		.amdhsa_exception_fp_denorm_src 0
		.amdhsa_exception_fp_ieee_div_zero 0
		.amdhsa_exception_fp_ieee_overflow 0
		.amdhsa_exception_fp_ieee_underflow 0
		.amdhsa_exception_fp_ieee_inexact 0
		.amdhsa_exception_int_div_zero 0
	.end_amdhsa_kernel
	.section	.text._ZN2at6native12_GLOBAL__N_125multi_tensor_apply_kernelINS1_18TensorListMetadataILi3EEENS1_20TernaryOpListFunctorIN3c108BFloat16ELi3ELi3ELi0EEEJNS0_11LerpFunctorIfEEEEEvT_T0_DpT1_,"axG",@progbits,_ZN2at6native12_GLOBAL__N_125multi_tensor_apply_kernelINS1_18TensorListMetadataILi3EEENS1_20TernaryOpListFunctorIN3c108BFloat16ELi3ELi3ELi0EEEJNS0_11LerpFunctorIfEEEEEvT_T0_DpT1_,comdat
.Lfunc_end11:
	.size	_ZN2at6native12_GLOBAL__N_125multi_tensor_apply_kernelINS1_18TensorListMetadataILi3EEENS1_20TernaryOpListFunctorIN3c108BFloat16ELi3ELi3ELi0EEEJNS0_11LerpFunctorIfEEEEEvT_T0_DpT1_, .Lfunc_end11-_ZN2at6native12_GLOBAL__N_125multi_tensor_apply_kernelINS1_18TensorListMetadataILi3EEENS1_20TernaryOpListFunctorIN3c108BFloat16ELi3ELi3ELi0EEEJNS0_11LerpFunctorIfEEEEEvT_T0_DpT1_
                                        ; -- End function
	.set _ZN2at6native12_GLOBAL__N_125multi_tensor_apply_kernelINS1_18TensorListMetadataILi3EEENS1_20TernaryOpListFunctorIN3c108BFloat16ELi3ELi3ELi0EEEJNS0_11LerpFunctorIfEEEEEvT_T0_DpT1_.num_vgpr, 48
	.set _ZN2at6native12_GLOBAL__N_125multi_tensor_apply_kernelINS1_18TensorListMetadataILi3EEENS1_20TernaryOpListFunctorIN3c108BFloat16ELi3ELi3ELi0EEEJNS0_11LerpFunctorIfEEEEEvT_T0_DpT1_.num_agpr, 0
	.set _ZN2at6native12_GLOBAL__N_125multi_tensor_apply_kernelINS1_18TensorListMetadataILi3EEENS1_20TernaryOpListFunctorIN3c108BFloat16ELi3ELi3ELi0EEEJNS0_11LerpFunctorIfEEEEEvT_T0_DpT1_.numbered_sgpr, 27
	.set _ZN2at6native12_GLOBAL__N_125multi_tensor_apply_kernelINS1_18TensorListMetadataILi3EEENS1_20TernaryOpListFunctorIN3c108BFloat16ELi3ELi3ELi0EEEJNS0_11LerpFunctorIfEEEEEvT_T0_DpT1_.num_named_barrier, 0
	.set _ZN2at6native12_GLOBAL__N_125multi_tensor_apply_kernelINS1_18TensorListMetadataILi3EEENS1_20TernaryOpListFunctorIN3c108BFloat16ELi3ELi3ELi0EEEJNS0_11LerpFunctorIfEEEEEvT_T0_DpT1_.private_seg_size, 0
	.set _ZN2at6native12_GLOBAL__N_125multi_tensor_apply_kernelINS1_18TensorListMetadataILi3EEENS1_20TernaryOpListFunctorIN3c108BFloat16ELi3ELi3ELi0EEEJNS0_11LerpFunctorIfEEEEEvT_T0_DpT1_.uses_vcc, 1
	.set _ZN2at6native12_GLOBAL__N_125multi_tensor_apply_kernelINS1_18TensorListMetadataILi3EEENS1_20TernaryOpListFunctorIN3c108BFloat16ELi3ELi3ELi0EEEJNS0_11LerpFunctorIfEEEEEvT_T0_DpT1_.uses_flat_scratch, 0
	.set _ZN2at6native12_GLOBAL__N_125multi_tensor_apply_kernelINS1_18TensorListMetadataILi3EEENS1_20TernaryOpListFunctorIN3c108BFloat16ELi3ELi3ELi0EEEJNS0_11LerpFunctorIfEEEEEvT_T0_DpT1_.has_dyn_sized_stack, 0
	.set _ZN2at6native12_GLOBAL__N_125multi_tensor_apply_kernelINS1_18TensorListMetadataILi3EEENS1_20TernaryOpListFunctorIN3c108BFloat16ELi3ELi3ELi0EEEJNS0_11LerpFunctorIfEEEEEvT_T0_DpT1_.has_recursion, 0
	.set _ZN2at6native12_GLOBAL__N_125multi_tensor_apply_kernelINS1_18TensorListMetadataILi3EEENS1_20TernaryOpListFunctorIN3c108BFloat16ELi3ELi3ELi0EEEJNS0_11LerpFunctorIfEEEEEvT_T0_DpT1_.has_indirect_call, 0
	.section	.AMDGPU.csdata,"",@progbits
; Kernel info:
; codeLenInByte = 2320
; TotalNumSgprs: 33
; NumVgprs: 48
; NumAgprs: 0
; TotalNumVgprs: 48
; ScratchSize: 0
; MemoryBound: 0
; FloatMode: 240
; IeeeMode: 1
; LDSByteSize: 0 bytes/workgroup (compile time only)
; SGPRBlocks: 4
; VGPRBlocks: 5
; NumSGPRsForWavesPerEU: 33
; NumVGPRsForWavesPerEU: 48
; AccumOffset: 48
; Occupancy: 8
; WaveLimiterHint : 0
; COMPUTE_PGM_RSRC2:SCRATCH_EN: 0
; COMPUTE_PGM_RSRC2:USER_SGPR: 2
; COMPUTE_PGM_RSRC2:TRAP_HANDLER: 0
; COMPUTE_PGM_RSRC2:TGID_X_EN: 1
; COMPUTE_PGM_RSRC2:TGID_Y_EN: 0
; COMPUTE_PGM_RSRC2:TGID_Z_EN: 0
; COMPUTE_PGM_RSRC2:TIDIG_COMP_CNT: 0
; COMPUTE_PGM_RSRC3_GFX90A:ACCUM_OFFSET: 11
; COMPUTE_PGM_RSRC3_GFX90A:TG_SPLIT: 0
	.section	.text._ZN2at6native12_GLOBAL__N_125multi_tensor_apply_kernelINS1_18TensorListMetadataILi3EEENS1_22TernaryOpScalarFunctorIdLi3ELi2ELi2EEEJNS0_11LerpFunctorIdEEdEEEvT_T0_DpT1_,"axG",@progbits,_ZN2at6native12_GLOBAL__N_125multi_tensor_apply_kernelINS1_18TensorListMetadataILi3EEENS1_22TernaryOpScalarFunctorIdLi3ELi2ELi2EEEJNS0_11LerpFunctorIdEEdEEEvT_T0_DpT1_,comdat
	.globl	_ZN2at6native12_GLOBAL__N_125multi_tensor_apply_kernelINS1_18TensorListMetadataILi3EEENS1_22TernaryOpScalarFunctorIdLi3ELi2ELi2EEEJNS0_11LerpFunctorIdEEdEEEvT_T0_DpT1_ ; -- Begin function _ZN2at6native12_GLOBAL__N_125multi_tensor_apply_kernelINS1_18TensorListMetadataILi3EEENS1_22TernaryOpScalarFunctorIdLi3ELi2ELi2EEEJNS0_11LerpFunctorIdEEdEEEvT_T0_DpT1_
	.p2align	8
	.type	_ZN2at6native12_GLOBAL__N_125multi_tensor_apply_kernelINS1_18TensorListMetadataILi3EEENS1_22TernaryOpScalarFunctorIdLi3ELi2ELi2EEEJNS0_11LerpFunctorIdEEdEEEvT_T0_DpT1_,@function
_ZN2at6native12_GLOBAL__N_125multi_tensor_apply_kernelINS1_18TensorListMetadataILi3EEENS1_22TernaryOpScalarFunctorIdLi3ELi2ELi2EEEJNS0_11LerpFunctorIdEEdEEEvT_T0_DpT1_: ; @_ZN2at6native12_GLOBAL__N_125multi_tensor_apply_kernelINS1_18TensorListMetadataILi3EEENS1_22TernaryOpScalarFunctorIdLi3ELi2ELi2EEEJNS0_11LerpFunctorIdEEdEEEvT_T0_DpT1_
; %bb.0:
	v_mov_b32_e32 v1, s2
	global_load_ubyte v1, v1, s[0:1] offset:1536
	s_add_u32 s3, s0, s2
	s_mul_hi_u32 s4, s2, 3
	s_mul_i32 s2, s2, 3
	s_addc_u32 s5, s1, 0
	s_add_u32 s2, s3, s2
	s_addc_u32 s3, s5, s4
	s_load_dword s16, s[2:3], 0x740
	s_load_dwordx2 s[8:9], s[0:1], 0xc50
	s_mov_b32 s3, 0
	s_mov_b32 s23, s3
	s_waitcnt lgkmcnt(0)
	s_ashr_i32 s17, s16, 31
	s_lshl_b64 s[10:11], s[16:17], 19
	s_waitcnt vmcnt(0)
	v_readfirstlane_b32 s2, v1
	s_lshl_b32 s2, s2, 3
	s_load_dwordx2 s[4:5], s[0:1], s2 offset:0x0
	s_load_dwordx2 s[24:25], s[0:1], s2 offset:0x480
	;; [unrolled: 1-line block ×4, first 2 shown]
	s_waitcnt lgkmcnt(0)
	s_add_u32 s12, s4, s10
	s_addc_u32 s13, s5, s11
	s_and_b32 s2, s12, 31
	s_add_u32 s18, s6, s10
	s_addc_u32 s19, s7, s11
	s_add_u32 s20, s14, s10
	s_addc_u32 s21, s15, s11
	s_or_b32 s22, s20, s18
	s_and_b32 s22, s22, 31
	s_cmp_lg_u32 s22, 0
	s_cselect_b64 s[26:27], -1, 0
	s_lshl_b64 s[16:17], s[16:17], 16
	s_sub_u32 s16, s24, s16
	s_subb_u32 s17, s25, s17
	s_and_b32 s22, s24, 3
	s_or_b64 s[2:3], s[2:3], s[22:23]
	s_cmp_lg_u64 s[2:3], 0
	s_cselect_b64 s[2:3], -1, 0
	s_or_b64 s[2:3], s[26:27], s[2:3]
	s_andn2_b64 vcc, exec, s[2:3]
	s_mov_b64 s[2:3], -1
	s_cbranch_vccz .LBB12_5
; %bb.1:
	v_mov_b64_e32 v[4:5], 0x10000
	v_cmp_lt_i64_e32 vcc, s[16:17], v[4:5]
	s_and_b64 s[2:3], vcc, exec
	v_mov_b32_e32 v3, 0
	s_cselect_b32 s23, s17, 0
	s_cselect_b32 s22, s16, 0x10000
	v_lshlrev_b32_e32 v2, 2, v0
	v_cmp_gt_i64_e32 vcc, s[22:23], v[2:3]
	s_and_saveexec_b64 s[24:25], vcc
	s_cbranch_execz .LBB12_4
; %bb.2:
	s_load_dword s2, s[0:1], 0xc64
	v_mov_b32_e32 v1, v3
	v_cmp_lt_f64_e64 vcc, |s[8:9]|, 0.5
	v_add_f64 v[4:5], -s[8:9], 1.0
	s_mov_b32 s27, 0
	s_waitcnt lgkmcnt(0)
	s_and_b32 s26, s2, 0xffff
	v_lshlrev_b32_e32 v2, 5, v0
	s_lshl_b32 s30, s26, 5
	s_mov_b64 s[28:29], 0
	v_mov_b64_e32 v[6:7], v[0:1]
.LBB12_3:                               ; =>This Inner Loop Header: Depth=1
	v_lshl_add_u64 v[26:27], s[18:19], 0, v[2:3]
	v_lshl_add_u64 v[24:25], s[12:13], 0, v[2:3]
	global_load_dwordx4 v[8:11], v[26:27], off
	global_load_dwordx4 v[12:15], v[24:25], off
	global_load_dwordx4 v[16:19], v[24:25], off offset:16
	global_load_dwordx4 v[20:23], v[26:27], off offset:16
	v_lshl_add_u64 v[24:25], s[20:21], 0, v[2:3]
	s_add_u32 s20, s20, s30
	s_addc_u32 s21, s21, 0
	v_lshl_add_u64 v[6:7], v[6:7], 0, s[26:27]
	s_add_u32 s12, s12, s30
	v_lshlrev_b64 v[26:27], 2, v[6:7]
	s_addc_u32 s13, s13, 0
	v_cmp_le_i64_e64 s[2:3], s[22:23], v[26:27]
	s_add_u32 s18, s18, s30
	s_addc_u32 s19, s19, 0
	s_or_b64 s[28:29], s[2:3], s[28:29]
	s_waitcnt vmcnt(2)
	v_add_f64 v[26:27], v[8:9], -v[12:13]
	v_add_f64 v[28:29], v[10:11], -v[14:15]
	s_waitcnt vmcnt(0)
	v_add_f64 v[30:31], v[20:21], -v[16:17]
	v_add_f64 v[32:33], v[22:23], -v[18:19]
	v_fmac_f64_e32 v[12:13], s[8:9], v[26:27]
	v_fma_f64 v[8:9], -v[4:5], v[26:27], v[8:9]
	v_fmac_f64_e32 v[14:15], s[8:9], v[28:29]
	v_fma_f64 v[10:11], -v[4:5], v[28:29], v[10:11]
	;; [unrolled: 2-line block ×4, first 2 shown]
	v_cndmask_b32_e32 v9, v9, v13, vcc
	v_cndmask_b32_e32 v8, v8, v12, vcc
	;; [unrolled: 1-line block ×8, first 2 shown]
	global_store_dwordx4 v[24:25], v[8:11], off
	global_store_dwordx4 v[24:25], v[12:15], off offset:16
	s_andn2_b64 exec, exec, s[28:29]
	s_cbranch_execnz .LBB12_3
.LBB12_4:
	s_or_b64 exec, exec, s[24:25]
	s_mov_b64 s[2:3], 0
.LBB12_5:
	s_andn2_b64 vcc, exec, s[2:3]
	s_cbranch_vccnz .LBB12_25
; %bb.6:
	v_cmp_lt_i64_e64 s[2:3], s[16:17], 1
	s_and_b64 vcc, exec, s[2:3]
	s_cbranch_vccnz .LBB12_25
; %bb.7:
	s_load_dword s2, s[0:1], 0xc64
	v_mov_b64_e32 v[2:3], 0x10000
	v_cmp_lt_i64_e32 vcc, s[16:17], v[2:3]
	s_and_b64 s[0:1], vcc, exec
	s_mov_b32 s3, 0
	s_cselect_b32 s13, s17, 0
	s_cselect_b32 s12, s16, 0x10000
	s_waitcnt lgkmcnt(0)
	s_and_b32 s2, s2, 0xffff
	v_cmp_lt_u64_e32 vcc, s[16:17], v[2:3]
	v_mov_b32_e32 v1, 0
	s_and_b64 s[0:1], vcc, exec
	s_mul_i32 s24, s2, 3
	s_mov_b32 s25, s3
	s_cselect_b32 s17, s17, 0
	s_cselect_b32 s16, s16, 0x10000
	v_lshlrev_b32_e32 v18, 3, v0
	v_mov_b32_e32 v19, v1
	v_lshl_add_u64 v[16:17], s[24:25], 0, v[0:1]
	s_lshl_b32 s24, s2, 4
	v_lshl_add_u64 v[26:27], v[0:1], 0, s[2:3]
	s_lshl_b32 s20, s2, 1
	s_mov_b32 s21, s3
	v_mad_u64_u32 v[14:15], s[26:27], s2, 24, v[18:19]
	v_lshl_add_u64 v[22:23], s[24:25], 0, v[18:19]
	v_lshlrev_b32_e32 v32, 3, v26
	v_mov_b32_e32 v33, v1
	v_cmp_lt_f64_e64 s[0:1], |s[8:9]|, 0.5
	v_add_f64 v[2:3], -s[8:9], 1.0
	s_lshl_b32 s22, s2, 2
	v_lshl_add_u64 v[4:5], s[4:5], 0, v[18:19]
	s_lshl_b32 s18, s2, 5
	s_mov_b32 s19, s3
	v_lshl_add_u64 v[6:7], s[6:7], 0, v[18:19]
	v_lshl_add_u64 v[8:9], s[14:15], 0, v[18:19]
	;; [unrolled: 1-line block ×12, first 2 shown]
	s_mov_b64 s[14:15], 0
	s_branch .LBB12_9
.LBB12_8:                               ;   in Loop: Header=BB12_9 Depth=1
	s_or_b64 exec, exec, s[2:3]
	s_add_u32 s14, s14, s22
	s_addc_u32 s15, s15, 0
	s_waitcnt vmcnt(0)
	v_mov_b64_e32 v[34:35], s[12:13]
	v_cmp_ge_i64_e32 vcc, s[14:15], v[34:35]
	v_lshl_add_u64 v[4:5], v[4:5], 0, s[18:19]
	v_lshl_add_u64 v[6:7], v[6:7], 0, s[18:19]
	;; [unrolled: 1-line block ×12, first 2 shown]
	s_cbranch_vccnz .LBB12_25
.LBB12_9:                               ; =>This Inner Loop Header: Depth=1
	v_lshl_add_u64 v[34:35], v[0:1], 0, s[14:15]
	v_cmp_gt_u64_e32 vcc, s[16:17], v[34:35]
	v_mov_b64_e32 v[34:35], 0
	v_mov_b64_e32 v[40:41], 0
	;; [unrolled: 1-line block ×3, first 2 shown]
	s_and_saveexec_b64 s[2:3], vcc
	s_cbranch_execz .LBB12_11
; %bb.10:                               ;   in Loop: Header=BB12_9 Depth=1
	v_lshl_add_u64 v[42:43], v[4:5], 0, s[10:11]
	v_lshl_add_u64 v[36:37], v[6:7], 0, s[10:11]
	global_load_dwordx2 v[38:39], v[42:43], off
	global_load_dwordx2 v[40:41], v[36:37], off
.LBB12_11:                              ;   in Loop: Header=BB12_9 Depth=1
	s_or_b64 exec, exec, s[2:3]
	v_lshl_add_u64 v[36:37], v[26:27], 0, s[14:15]
	v_cmp_gt_u64_e64 s[2:3], s[16:17], v[36:37]
	v_mov_b64_e32 v[42:43], 0
	s_and_saveexec_b64 s[4:5], s[2:3]
	s_cbranch_execz .LBB12_13
; %bb.12:                               ;   in Loop: Header=BB12_9 Depth=1
	v_lshl_add_u64 v[44:45], v[28:29], 0, s[10:11]
	v_lshl_add_u64 v[36:37], v[30:31], 0, s[10:11]
	global_load_dwordx2 v[42:43], v[44:45], off
	global_load_dwordx2 v[34:35], v[36:37], off
.LBB12_13:                              ;   in Loop: Header=BB12_9 Depth=1
	s_or_b64 exec, exec, s[4:5]
	v_lshl_add_u64 v[36:37], v[24:25], 0, s[14:15]
	v_cmp_gt_u64_e64 s[4:5], s[16:17], v[36:37]
	v_mov_b64_e32 v[36:37], 0
	v_mov_b64_e32 v[46:47], 0
	;; [unrolled: 1-line block ×3, first 2 shown]
	s_and_saveexec_b64 s[6:7], s[4:5]
	s_cbranch_execz .LBB12_15
; %bb.14:                               ;   in Loop: Header=BB12_9 Depth=1
	v_lshl_add_u64 v[50:51], v[18:19], 0, s[10:11]
	v_lshl_add_u64 v[48:49], v[20:21], 0, s[10:11]
	global_load_dwordx2 v[44:45], v[50:51], off
	global_load_dwordx2 v[46:47], v[48:49], off
.LBB12_15:                              ;   in Loop: Header=BB12_9 Depth=1
	s_or_b64 exec, exec, s[6:7]
	v_lshl_add_u64 v[48:49], v[16:17], 0, s[14:15]
	v_cmp_gt_u64_e64 s[6:7], s[16:17], v[48:49]
	v_mov_b64_e32 v[48:49], 0
	s_and_saveexec_b64 s[20:21], s[6:7]
	s_cbranch_execnz .LBB12_20
; %bb.16:                               ;   in Loop: Header=BB12_9 Depth=1
	s_or_b64 exec, exec, s[20:21]
	s_and_saveexec_b64 s[20:21], vcc
	s_cbranch_execnz .LBB12_21
.LBB12_17:                              ;   in Loop: Header=BB12_9 Depth=1
	s_or_b64 exec, exec, s[20:21]
	s_and_saveexec_b64 s[20:21], s[2:3]
	s_cbranch_execnz .LBB12_22
.LBB12_18:                              ;   in Loop: Header=BB12_9 Depth=1
	s_or_b64 exec, exec, s[20:21]
	s_and_saveexec_b64 s[2:3], s[4:5]
	s_cbranch_execnz .LBB12_23
.LBB12_19:                              ;   in Loop: Header=BB12_9 Depth=1
	s_or_b64 exec, exec, s[2:3]
	s_and_saveexec_b64 s[2:3], s[6:7]
	s_cbranch_execz .LBB12_8
	s_branch .LBB12_24
.LBB12_20:                              ;   in Loop: Header=BB12_9 Depth=1
	v_lshl_add_u64 v[52:53], v[10:11], 0, s[10:11]
	v_lshl_add_u64 v[50:51], v[12:13], 0, s[10:11]
	global_load_dwordx2 v[48:49], v[52:53], off
	global_load_dwordx2 v[36:37], v[50:51], off
	s_or_b64 exec, exec, s[20:21]
	s_and_saveexec_b64 s[20:21], vcc
	s_cbranch_execz .LBB12_17
.LBB12_21:                              ;   in Loop: Header=BB12_9 Depth=1
	s_waitcnt vmcnt(0)
	v_add_f64 v[52:53], v[40:41], -v[38:39]
	v_fmac_f64_e32 v[38:39], s[8:9], v[52:53]
	v_fma_f64 v[40:41], -v[2:3], v[52:53], v[40:41]
	v_lshl_add_u64 v[50:51], v[8:9], 0, s[10:11]
	v_cndmask_b32_e64 v39, v41, v39, s[0:1]
	v_cndmask_b32_e64 v38, v40, v38, s[0:1]
	global_store_dwordx2 v[50:51], v[38:39], off
	s_or_b64 exec, exec, s[20:21]
	s_and_saveexec_b64 s[20:21], s[2:3]
	s_cbranch_execz .LBB12_18
.LBB12_22:                              ;   in Loop: Header=BB12_9 Depth=1
	s_waitcnt vmcnt(0)
	v_add_f64 v[38:39], v[34:35], -v[42:43]
	v_fmac_f64_e32 v[42:43], s[8:9], v[38:39]
	v_fma_f64 v[34:35], -v[2:3], v[38:39], v[34:35]
	v_cndmask_b32_e64 v35, v35, v43, s[0:1]
	v_cndmask_b32_e64 v34, v34, v42, s[0:1]
	v_lshl_add_u64 v[38:39], v[32:33], 0, s[10:11]
	global_store_dwordx2 v[38:39], v[34:35], off
	s_or_b64 exec, exec, s[20:21]
	s_and_saveexec_b64 s[2:3], s[4:5]
	s_cbranch_execz .LBB12_19
.LBB12_23:                              ;   in Loop: Header=BB12_9 Depth=1
	s_waitcnt vmcnt(0)
	v_add_f64 v[34:35], v[46:47], -v[44:45]
	v_fmac_f64_e32 v[44:45], s[8:9], v[34:35]
	v_fma_f64 v[34:35], -v[2:3], v[34:35], v[46:47]
	v_cndmask_b32_e64 v35, v35, v45, s[0:1]
	v_cndmask_b32_e64 v34, v34, v44, s[0:1]
	v_lshl_add_u64 v[38:39], v[22:23], 0, s[10:11]
	global_store_dwordx2 v[38:39], v[34:35], off
	s_or_b64 exec, exec, s[2:3]
	s_and_saveexec_b64 s[2:3], s[6:7]
	s_cbranch_execz .LBB12_8
.LBB12_24:                              ;   in Loop: Header=BB12_9 Depth=1
	s_waitcnt vmcnt(0)
	v_add_f64 v[34:35], v[36:37], -v[48:49]
	v_fmac_f64_e32 v[48:49], s[8:9], v[34:35]
	v_fma_f64 v[34:35], -v[2:3], v[34:35], v[36:37]
	v_cndmask_b32_e64 v35, v35, v49, s[0:1]
	v_cndmask_b32_e64 v34, v34, v48, s[0:1]
	v_lshl_add_u64 v[36:37], v[14:15], 0, s[10:11]
	global_store_dwordx2 v[36:37], v[34:35], off
	s_branch .LBB12_8
.LBB12_25:
	s_endpgm
	.section	.rodata,"a",@progbits
	.p2align	6, 0x0
	.amdhsa_kernel _ZN2at6native12_GLOBAL__N_125multi_tensor_apply_kernelINS1_18TensorListMetadataILi3EEENS1_22TernaryOpScalarFunctorIdLi3ELi2ELi2EEEJNS0_11LerpFunctorIdEEdEEEvT_T0_DpT1_
		.amdhsa_group_segment_fixed_size 0
		.amdhsa_private_segment_fixed_size 0
		.amdhsa_kernarg_size 3416
		.amdhsa_user_sgpr_count 2
		.amdhsa_user_sgpr_dispatch_ptr 0
		.amdhsa_user_sgpr_queue_ptr 0
		.amdhsa_user_sgpr_kernarg_segment_ptr 1
		.amdhsa_user_sgpr_dispatch_id 0
		.amdhsa_user_sgpr_kernarg_preload_length 0
		.amdhsa_user_sgpr_kernarg_preload_offset 0
		.amdhsa_user_sgpr_private_segment_size 0
		.amdhsa_uses_dynamic_stack 0
		.amdhsa_enable_private_segment 0
		.amdhsa_system_sgpr_workgroup_id_x 1
		.amdhsa_system_sgpr_workgroup_id_y 0
		.amdhsa_system_sgpr_workgroup_id_z 0
		.amdhsa_system_sgpr_workgroup_info 0
		.amdhsa_system_vgpr_workitem_id 0
		.amdhsa_next_free_vgpr 54
		.amdhsa_next_free_sgpr 31
		.amdhsa_accum_offset 56
		.amdhsa_reserve_vcc 1
		.amdhsa_float_round_mode_32 0
		.amdhsa_float_round_mode_16_64 0
		.amdhsa_float_denorm_mode_32 3
		.amdhsa_float_denorm_mode_16_64 3
		.amdhsa_dx10_clamp 1
		.amdhsa_ieee_mode 1
		.amdhsa_fp16_overflow 0
		.amdhsa_tg_split 0
		.amdhsa_exception_fp_ieee_invalid_op 0
		.amdhsa_exception_fp_denorm_src 0
		.amdhsa_exception_fp_ieee_div_zero 0
		.amdhsa_exception_fp_ieee_overflow 0
		.amdhsa_exception_fp_ieee_underflow 0
		.amdhsa_exception_fp_ieee_inexact 0
		.amdhsa_exception_int_div_zero 0
	.end_amdhsa_kernel
	.section	.text._ZN2at6native12_GLOBAL__N_125multi_tensor_apply_kernelINS1_18TensorListMetadataILi3EEENS1_22TernaryOpScalarFunctorIdLi3ELi2ELi2EEEJNS0_11LerpFunctorIdEEdEEEvT_T0_DpT1_,"axG",@progbits,_ZN2at6native12_GLOBAL__N_125multi_tensor_apply_kernelINS1_18TensorListMetadataILi3EEENS1_22TernaryOpScalarFunctorIdLi3ELi2ELi2EEEJNS0_11LerpFunctorIdEEdEEEvT_T0_DpT1_,comdat
.Lfunc_end12:
	.size	_ZN2at6native12_GLOBAL__N_125multi_tensor_apply_kernelINS1_18TensorListMetadataILi3EEENS1_22TernaryOpScalarFunctorIdLi3ELi2ELi2EEEJNS0_11LerpFunctorIdEEdEEEvT_T0_DpT1_, .Lfunc_end12-_ZN2at6native12_GLOBAL__N_125multi_tensor_apply_kernelINS1_18TensorListMetadataILi3EEENS1_22TernaryOpScalarFunctorIdLi3ELi2ELi2EEEJNS0_11LerpFunctorIdEEdEEEvT_T0_DpT1_
                                        ; -- End function
	.set _ZN2at6native12_GLOBAL__N_125multi_tensor_apply_kernelINS1_18TensorListMetadataILi3EEENS1_22TernaryOpScalarFunctorIdLi3ELi2ELi2EEEJNS0_11LerpFunctorIdEEdEEEvT_T0_DpT1_.num_vgpr, 54
	.set _ZN2at6native12_GLOBAL__N_125multi_tensor_apply_kernelINS1_18TensorListMetadataILi3EEENS1_22TernaryOpScalarFunctorIdLi3ELi2ELi2EEEJNS0_11LerpFunctorIdEEdEEEvT_T0_DpT1_.num_agpr, 0
	.set _ZN2at6native12_GLOBAL__N_125multi_tensor_apply_kernelINS1_18TensorListMetadataILi3EEENS1_22TernaryOpScalarFunctorIdLi3ELi2ELi2EEEJNS0_11LerpFunctorIdEEdEEEvT_T0_DpT1_.numbered_sgpr, 31
	.set _ZN2at6native12_GLOBAL__N_125multi_tensor_apply_kernelINS1_18TensorListMetadataILi3EEENS1_22TernaryOpScalarFunctorIdLi3ELi2ELi2EEEJNS0_11LerpFunctorIdEEdEEEvT_T0_DpT1_.num_named_barrier, 0
	.set _ZN2at6native12_GLOBAL__N_125multi_tensor_apply_kernelINS1_18TensorListMetadataILi3EEENS1_22TernaryOpScalarFunctorIdLi3ELi2ELi2EEEJNS0_11LerpFunctorIdEEdEEEvT_T0_DpT1_.private_seg_size, 0
	.set _ZN2at6native12_GLOBAL__N_125multi_tensor_apply_kernelINS1_18TensorListMetadataILi3EEENS1_22TernaryOpScalarFunctorIdLi3ELi2ELi2EEEJNS0_11LerpFunctorIdEEdEEEvT_T0_DpT1_.uses_vcc, 1
	.set _ZN2at6native12_GLOBAL__N_125multi_tensor_apply_kernelINS1_18TensorListMetadataILi3EEENS1_22TernaryOpScalarFunctorIdLi3ELi2ELi2EEEJNS0_11LerpFunctorIdEEdEEEvT_T0_DpT1_.uses_flat_scratch, 0
	.set _ZN2at6native12_GLOBAL__N_125multi_tensor_apply_kernelINS1_18TensorListMetadataILi3EEENS1_22TernaryOpScalarFunctorIdLi3ELi2ELi2EEEJNS0_11LerpFunctorIdEEdEEEvT_T0_DpT1_.has_dyn_sized_stack, 0
	.set _ZN2at6native12_GLOBAL__N_125multi_tensor_apply_kernelINS1_18TensorListMetadataILi3EEENS1_22TernaryOpScalarFunctorIdLi3ELi2ELi2EEEJNS0_11LerpFunctorIdEEdEEEvT_T0_DpT1_.has_recursion, 0
	.set _ZN2at6native12_GLOBAL__N_125multi_tensor_apply_kernelINS1_18TensorListMetadataILi3EEENS1_22TernaryOpScalarFunctorIdLi3ELi2ELi2EEEJNS0_11LerpFunctorIdEEdEEEvT_T0_DpT1_.has_indirect_call, 0
	.section	.AMDGPU.csdata,"",@progbits
; Kernel info:
; codeLenInByte = 1604
; TotalNumSgprs: 37
; NumVgprs: 54
; NumAgprs: 0
; TotalNumVgprs: 54
; ScratchSize: 0
; MemoryBound: 0
; FloatMode: 240
; IeeeMode: 1
; LDSByteSize: 0 bytes/workgroup (compile time only)
; SGPRBlocks: 4
; VGPRBlocks: 6
; NumSGPRsForWavesPerEU: 37
; NumVGPRsForWavesPerEU: 54
; AccumOffset: 56
; Occupancy: 8
; WaveLimiterHint : 0
; COMPUTE_PGM_RSRC2:SCRATCH_EN: 0
; COMPUTE_PGM_RSRC2:USER_SGPR: 2
; COMPUTE_PGM_RSRC2:TRAP_HANDLER: 0
; COMPUTE_PGM_RSRC2:TGID_X_EN: 1
; COMPUTE_PGM_RSRC2:TGID_Y_EN: 0
; COMPUTE_PGM_RSRC2:TGID_Z_EN: 0
; COMPUTE_PGM_RSRC2:TIDIG_COMP_CNT: 0
; COMPUTE_PGM_RSRC3_GFX90A:ACCUM_OFFSET: 13
; COMPUTE_PGM_RSRC3_GFX90A:TG_SPLIT: 0
	.section	.text._ZN2at6native12_GLOBAL__N_125multi_tensor_apply_kernelINS1_18TensorListMetadataILi3EEENS1_22TernaryOpScalarFunctorIfLi3ELi2ELi2EEEJNS0_11LerpFunctorIfEEfEEEvT_T0_DpT1_,"axG",@progbits,_ZN2at6native12_GLOBAL__N_125multi_tensor_apply_kernelINS1_18TensorListMetadataILi3EEENS1_22TernaryOpScalarFunctorIfLi3ELi2ELi2EEEJNS0_11LerpFunctorIfEEfEEEvT_T0_DpT1_,comdat
	.globl	_ZN2at6native12_GLOBAL__N_125multi_tensor_apply_kernelINS1_18TensorListMetadataILi3EEENS1_22TernaryOpScalarFunctorIfLi3ELi2ELi2EEEJNS0_11LerpFunctorIfEEfEEEvT_T0_DpT1_ ; -- Begin function _ZN2at6native12_GLOBAL__N_125multi_tensor_apply_kernelINS1_18TensorListMetadataILi3EEENS1_22TernaryOpScalarFunctorIfLi3ELi2ELi2EEEJNS0_11LerpFunctorIfEEfEEEvT_T0_DpT1_
	.p2align	8
	.type	_ZN2at6native12_GLOBAL__N_125multi_tensor_apply_kernelINS1_18TensorListMetadataILi3EEENS1_22TernaryOpScalarFunctorIfLi3ELi2ELi2EEEJNS0_11LerpFunctorIfEEfEEEvT_T0_DpT1_,@function
_ZN2at6native12_GLOBAL__N_125multi_tensor_apply_kernelINS1_18TensorListMetadataILi3EEENS1_22TernaryOpScalarFunctorIfLi3ELi2ELi2EEEJNS0_11LerpFunctorIfEEfEEEvT_T0_DpT1_: ; @_ZN2at6native12_GLOBAL__N_125multi_tensor_apply_kernelINS1_18TensorListMetadataILi3EEENS1_22TernaryOpScalarFunctorIfLi3ELi2ELi2EEEJNS0_11LerpFunctorIfEEfEEEvT_T0_DpT1_
; %bb.0:
	v_mov_b32_e32 v1, s2
	global_load_ubyte v1, v1, s[0:1] offset:1536
	s_add_u32 s4, s0, s2
	s_mul_hi_u32 s5, s2, 3
	s_mul_i32 s2, s2, 3
	s_addc_u32 s6, s1, 0
	s_add_u32 s4, s4, s2
	s_addc_u32 s5, s6, s5
	s_load_dword s8, s[0:1], 0xc4c
	s_load_dword s14, s[4:5], 0x740
	s_mov_b32 s3, 0
	s_mov_b32 s13, s3
	s_waitcnt lgkmcnt(0)
	s_ashr_i32 s15, s14, 31
	s_lshl_b64 s[10:11], s[14:15], 18
	s_waitcnt vmcnt(0)
	v_readfirstlane_b32 s2, v1
	s_lshl_b32 s2, s2, 3
	s_load_dwordx2 s[16:17], s[0:1], s2 offset:0x480
	s_load_dwordx2 s[4:5], s[0:1], s2 offset:0x0
	;; [unrolled: 1-line block ×4, first 2 shown]
	s_waitcnt lgkmcnt(0)
	s_and_b32 s2, s4, 15
	s_add_u32 s9, s6, s10
	s_or_b32 s9, s18, s9
	s_and_b32 s9, s9, 15
	s_cmp_lg_u32 s9, 0
	s_cselect_b64 s[20:21], -1, 0
	s_lshl_b64 s[14:15], s[14:15], 16
	s_sub_u32 s14, s16, s14
	s_subb_u32 s15, s17, s15
	s_and_b32 s12, s16, 3
	s_or_b64 s[2:3], s[2:3], s[12:13]
	s_cmp_lg_u64 s[2:3], 0
	s_cselect_b64 s[2:3], -1, 0
	s_or_b64 s[2:3], s[20:21], s[2:3]
	s_andn2_b64 vcc, exec, s[2:3]
	s_mov_b64 s[2:3], -1
	s_cbranch_vccz .LBB13_5
; %bb.1:
	v_mov_b64_e32 v[2:3], 0x10000
	v_cmp_lt_i64_e32 vcc, s[14:15], v[2:3]
	s_and_b64 s[2:3], vcc, exec
	v_mov_b32_e32 v5, 0
	s_cselect_b32 s13, s15, 0
	s_cselect_b32 s12, s14, 0x10000
	v_lshlrev_b32_e32 v4, 2, v0
	v_cmp_gt_i64_e32 vcc, s[12:13], v[4:5]
	s_and_saveexec_b64 s[16:17], vcc
	s_cbranch_execz .LBB13_4
; %bb.2:
	s_load_dword s2, s[0:1], 0xc5c
	v_mov_b32_e32 v1, v5
	v_sub_f32_e64 v2, 1.0, s8
	s_mov_b32 s21, 0
	v_lshlrev_b32_e32 v4, 4, v0
	s_waitcnt lgkmcnt(0)
	s_and_b32 s20, s2, 0xffff
	s_lshl_b32 s22, s20, 4
	s_add_u32 s24, s4, 8
	s_addc_u32 s25, s5, 0
	s_add_u32 s26, s6, 8
	v_cmp_lt_f32_e64 vcc, |s8|, 0.5
	s_mov_b32 s9, s8
	v_mov_b32_e32 v3, v2
	v_lshl_add_u64 v[4:5], s[10:11], 0, v[4:5]
	s_mov_b32 s23, s21
	s_addc_u32 s27, s7, 0
	s_mov_b64 s[28:29], 0
	v_mov_b64_e32 v[6:7], v[0:1]
.LBB13_3:                               ; =>This Inner Loop Header: Depth=1
	v_lshl_add_u64 v[16:17], s[24:25], 0, v[4:5]
	v_lshl_add_u64 v[18:19], s[26:27], 0, v[4:5]
	global_load_dwordx4 v[8:11], v[16:17], off offset:-8
	global_load_dwordx4 v[12:15], v[18:19], off offset:-8
	v_lshl_add_u64 v[6:7], v[6:7], 0, s[20:21]
	v_lshlrev_b64 v[18:19], 2, v[6:7]
	v_cmp_le_i64_e64 s[2:3], s[12:13], v[18:19]
	v_lshl_add_u64 v[16:17], s[18:19], 0, v[4:5]
	v_lshl_add_u64 v[4:5], v[4:5], 0, s[22:23]
	s_or_b64 s[28:29], s[2:3], s[28:29]
	s_waitcnt vmcnt(0)
	v_pk_add_f32 v[18:19], v[12:13], v[8:9] neg_lo:[0,1] neg_hi:[0,1]
	v_pk_add_f32 v[20:21], v[14:15], v[10:11] neg_lo:[0,1] neg_hi:[0,1]
	v_pk_fma_f32 v[8:9], s[8:9], v[18:19], v[8:9]
	v_pk_fma_f32 v[12:13], v[2:3], v[18:19], v[12:13] neg_lo:[1,0,0] neg_hi:[1,0,0]
	v_pk_fma_f32 v[10:11], s[8:9], v[20:21], v[10:11]
	v_pk_fma_f32 v[14:15], v[2:3], v[20:21], v[14:15] neg_lo:[1,0,0] neg_hi:[1,0,0]
	v_cndmask_b32_e32 v9, v13, v9, vcc
	v_cndmask_b32_e32 v8, v12, v8, vcc
	;; [unrolled: 1-line block ×4, first 2 shown]
	global_store_dwordx4 v[16:17], v[8:11], off
	s_andn2_b64 exec, exec, s[28:29]
	s_cbranch_execnz .LBB13_3
.LBB13_4:
	s_or_b64 exec, exec, s[16:17]
	s_mov_b64 s[2:3], 0
.LBB13_5:
	s_andn2_b64 vcc, exec, s[2:3]
	s_cbranch_vccnz .LBB13_25
; %bb.6:
	v_cmp_lt_i64_e64 s[2:3], s[14:15], 1
	s_and_b64 vcc, exec, s[2:3]
	s_cbranch_vccnz .LBB13_25
; %bb.7:
	s_load_dword s2, s[0:1], 0xc5c
	v_mov_b64_e32 v[2:3], 0x10000
	v_cmp_lt_i64_e32 vcc, s[14:15], v[2:3]
	s_and_b64 s[0:1], vcc, exec
	s_mov_b32 s3, 0
	s_cselect_b32 s13, s15, 0
	s_cselect_b32 s12, s14, 0x10000
	s_waitcnt lgkmcnt(0)
	s_and_b32 s2, s2, 0xffff
	v_cmp_lt_u64_e32 vcc, s[14:15], v[2:3]
	v_mov_b32_e32 v1, 0
	s_and_b64 s[0:1], vcc, exec
	s_mul_i32 s22, s2, 3
	s_mov_b32 s23, s3
	s_cselect_b32 s15, s15, 0
	s_cselect_b32 s14, s14, 0x10000
	v_lshlrev_b32_e32 v16, 2, v0
	v_mov_b32_e32 v17, v1
	v_lshl_add_u64 v[14:15], s[22:23], 0, v[0:1]
	s_lshl_b32 s22, s2, 3
	v_lshl_add_u64 v[24:25], v[0:1], 0, s[2:3]
	s_lshl_b32 s20, s2, 1
	s_mov_b32 s21, s3
	v_mad_u64_u32 v[12:13], s[24:25], s2, 12, v[16:17]
	v_lshl_add_u64 v[20:21], s[22:23], 0, v[16:17]
	v_lshlrev_b32_e32 v30, 2, v24
	v_mov_b32_e32 v31, v1
	v_cmp_lt_f32_e64 s[0:1], |s8|, 0.5
	v_sub_f32_e64 v32, 1.0, s8
	s_lshl_b32 s9, s2, 2
	v_lshl_add_u64 v[2:3], s[4:5], 0, v[16:17]
	s_lshl_b32 s16, s2, 4
	s_mov_b32 s17, s3
	v_lshl_add_u64 v[4:5], s[6:7], 0, v[16:17]
	v_lshl_add_u64 v[6:7], s[18:19], 0, v[16:17]
	;; [unrolled: 1-line block ×12, first 2 shown]
	s_mov_b64 s[18:19], 0
	s_branch .LBB13_9
.LBB13_8:                               ;   in Loop: Header=BB13_9 Depth=1
	s_or_b64 exec, exec, s[2:3]
	s_add_u32 s18, s18, s9
	s_addc_u32 s19, s19, 0
	s_waitcnt vmcnt(0)
	v_mov_b64_e32 v[34:35], s[12:13]
	v_cmp_ge_i64_e32 vcc, s[18:19], v[34:35]
	v_lshl_add_u64 v[2:3], v[2:3], 0, s[16:17]
	v_lshl_add_u64 v[4:5], v[4:5], 0, s[16:17]
	;; [unrolled: 1-line block ×12, first 2 shown]
	s_cbranch_vccnz .LBB13_25
.LBB13_9:                               ; =>This Inner Loop Header: Depth=1
	v_lshl_add_u64 v[34:35], v[0:1], 0, s[18:19]
	v_cmp_gt_u64_e32 vcc, s[14:15], v[34:35]
	v_mov_b32_e32 v35, 0
	v_mov_b32_e32 v34, 0
	s_and_saveexec_b64 s[2:3], vcc
	s_cbranch_execz .LBB13_11
; %bb.10:                               ;   in Loop: Header=BB13_9 Depth=1
	v_lshl_add_u64 v[38:39], v[2:3], 0, s[10:11]
	v_lshl_add_u64 v[36:37], v[4:5], 0, s[10:11]
	global_load_dword v34, v[38:39], off
	global_load_dword v35, v[36:37], off
.LBB13_11:                              ;   in Loop: Header=BB13_9 Depth=1
	s_or_b64 exec, exec, s[2:3]
	v_lshl_add_u64 v[36:37], v[24:25], 0, s[18:19]
	v_cmp_gt_u64_e64 s[2:3], s[14:15], v[36:37]
	v_mov_b32_e32 v33, 0
	v_mov_b32_e32 v37, 0
	;; [unrolled: 1-line block ×3, first 2 shown]
	s_and_saveexec_b64 s[4:5], s[2:3]
	s_cbranch_execz .LBB13_13
; %bb.12:                               ;   in Loop: Header=BB13_9 Depth=1
	v_lshl_add_u64 v[40:41], v[26:27], 0, s[10:11]
	v_lshl_add_u64 v[38:39], v[28:29], 0, s[10:11]
	global_load_dword v36, v[40:41], off
	global_load_dword v37, v[38:39], off
.LBB13_13:                              ;   in Loop: Header=BB13_9 Depth=1
	s_or_b64 exec, exec, s[4:5]
	v_lshl_add_u64 v[38:39], v[22:23], 0, s[18:19]
	v_cmp_gt_u64_e64 s[4:5], s[14:15], v[38:39]
	v_mov_b32_e32 v38, 0
	s_and_saveexec_b64 s[6:7], s[4:5]
	s_cbranch_execz .LBB13_15
; %bb.14:                               ;   in Loop: Header=BB13_9 Depth=1
	v_lshl_add_u64 v[42:43], v[16:17], 0, s[10:11]
	v_lshl_add_u64 v[40:41], v[18:19], 0, s[10:11]
	global_load_dword v38, v[42:43], off
	global_load_dword v33, v[40:41], off
.LBB13_15:                              ;   in Loop: Header=BB13_9 Depth=1
	s_or_b64 exec, exec, s[6:7]
	v_lshl_add_u64 v[40:41], v[14:15], 0, s[18:19]
	v_cmp_gt_u64_e64 s[6:7], s[14:15], v[40:41]
	v_mov_b32_e32 v39, 0
	v_mov_b32_e32 v40, 0
	s_and_saveexec_b64 s[20:21], s[6:7]
	s_cbranch_execnz .LBB13_20
; %bb.16:                               ;   in Loop: Header=BB13_9 Depth=1
	s_or_b64 exec, exec, s[20:21]
	s_and_saveexec_b64 s[20:21], vcc
	s_cbranch_execnz .LBB13_21
.LBB13_17:                              ;   in Loop: Header=BB13_9 Depth=1
	s_or_b64 exec, exec, s[20:21]
	s_and_saveexec_b64 s[20:21], s[2:3]
	s_cbranch_execnz .LBB13_22
.LBB13_18:                              ;   in Loop: Header=BB13_9 Depth=1
	s_or_b64 exec, exec, s[20:21]
	s_and_saveexec_b64 s[2:3], s[4:5]
	s_cbranch_execnz .LBB13_23
.LBB13_19:                              ;   in Loop: Header=BB13_9 Depth=1
	s_or_b64 exec, exec, s[2:3]
	s_and_saveexec_b64 s[2:3], s[6:7]
	s_cbranch_execz .LBB13_8
	s_branch .LBB13_24
.LBB13_20:                              ;   in Loop: Header=BB13_9 Depth=1
	v_lshl_add_u64 v[44:45], v[8:9], 0, s[10:11]
	v_lshl_add_u64 v[42:43], v[10:11], 0, s[10:11]
	global_load_dword v40, v[44:45], off
	global_load_dword v39, v[42:43], off
	s_or_b64 exec, exec, s[20:21]
	s_and_saveexec_b64 s[20:21], vcc
	s_cbranch_execz .LBB13_17
.LBB13_21:                              ;   in Loop: Header=BB13_9 Depth=1
	s_waitcnt vmcnt(0)
	v_sub_f32_e32 v41, v35, v34
	v_fmac_f32_e32 v34, s8, v41
	v_fma_f32 v35, -v32, v41, v35
	v_lshl_add_u64 v[42:43], v[6:7], 0, s[10:11]
	v_cndmask_b32_e64 v34, v35, v34, s[0:1]
	global_store_dword v[42:43], v34, off
	s_or_b64 exec, exec, s[20:21]
	s_and_saveexec_b64 s[20:21], s[2:3]
	s_cbranch_execz .LBB13_18
.LBB13_22:                              ;   in Loop: Header=BB13_9 Depth=1
	s_waitcnt vmcnt(0)
	v_sub_f32_e32 v34, v37, v36
	v_fmac_f32_e32 v36, s8, v34
	v_fma_f32 v34, -v32, v34, v37
	v_cndmask_b32_e64 v36, v34, v36, s[0:1]
	v_lshl_add_u64 v[34:35], v[30:31], 0, s[10:11]
	global_store_dword v[34:35], v36, off
	s_or_b64 exec, exec, s[20:21]
	s_and_saveexec_b64 s[2:3], s[4:5]
	s_cbranch_execz .LBB13_19
.LBB13_23:                              ;   in Loop: Header=BB13_9 Depth=1
	s_waitcnt vmcnt(0)
	v_sub_f32_e32 v34, v33, v38
	v_fmac_f32_e32 v38, s8, v34
	v_fma_f32 v33, -v32, v34, v33
	v_cndmask_b32_e64 v33, v33, v38, s[0:1]
	v_lshl_add_u64 v[34:35], v[20:21], 0, s[10:11]
	global_store_dword v[34:35], v33, off
	s_or_b64 exec, exec, s[2:3]
	s_and_saveexec_b64 s[2:3], s[6:7]
	s_cbranch_execz .LBB13_8
.LBB13_24:                              ;   in Loop: Header=BB13_9 Depth=1
	s_waitcnt vmcnt(0)
	v_sub_f32_e32 v33, v39, v40
	v_fmac_f32_e32 v40, s8, v33
	v_fma_f32 v33, -v32, v33, v39
	v_cndmask_b32_e64 v33, v33, v40, s[0:1]
	v_lshl_add_u64 v[34:35], v[12:13], 0, s[10:11]
	global_store_dword v[34:35], v33, off
	s_branch .LBB13_8
.LBB13_25:
	s_endpgm
	.section	.rodata,"a",@progbits
	.p2align	6, 0x0
	.amdhsa_kernel _ZN2at6native12_GLOBAL__N_125multi_tensor_apply_kernelINS1_18TensorListMetadataILi3EEENS1_22TernaryOpScalarFunctorIfLi3ELi2ELi2EEEJNS0_11LerpFunctorIfEEfEEEvT_T0_DpT1_
		.amdhsa_group_segment_fixed_size 0
		.amdhsa_private_segment_fixed_size 0
		.amdhsa_kernarg_size 3408
		.amdhsa_user_sgpr_count 2
		.amdhsa_user_sgpr_dispatch_ptr 0
		.amdhsa_user_sgpr_queue_ptr 0
		.amdhsa_user_sgpr_kernarg_segment_ptr 1
		.amdhsa_user_sgpr_dispatch_id 0
		.amdhsa_user_sgpr_kernarg_preload_length 0
		.amdhsa_user_sgpr_kernarg_preload_offset 0
		.amdhsa_user_sgpr_private_segment_size 0
		.amdhsa_uses_dynamic_stack 0
		.amdhsa_enable_private_segment 0
		.amdhsa_system_sgpr_workgroup_id_x 1
		.amdhsa_system_sgpr_workgroup_id_y 0
		.amdhsa_system_sgpr_workgroup_id_z 0
		.amdhsa_system_sgpr_workgroup_info 0
		.amdhsa_system_vgpr_workitem_id 0
		.amdhsa_next_free_vgpr 46
		.amdhsa_next_free_sgpr 30
		.amdhsa_accum_offset 48
		.amdhsa_reserve_vcc 1
		.amdhsa_float_round_mode_32 0
		.amdhsa_float_round_mode_16_64 0
		.amdhsa_float_denorm_mode_32 3
		.amdhsa_float_denorm_mode_16_64 3
		.amdhsa_dx10_clamp 1
		.amdhsa_ieee_mode 1
		.amdhsa_fp16_overflow 0
		.amdhsa_tg_split 0
		.amdhsa_exception_fp_ieee_invalid_op 0
		.amdhsa_exception_fp_denorm_src 0
		.amdhsa_exception_fp_ieee_div_zero 0
		.amdhsa_exception_fp_ieee_overflow 0
		.amdhsa_exception_fp_ieee_underflow 0
		.amdhsa_exception_fp_ieee_inexact 0
		.amdhsa_exception_int_div_zero 0
	.end_amdhsa_kernel
	.section	.text._ZN2at6native12_GLOBAL__N_125multi_tensor_apply_kernelINS1_18TensorListMetadataILi3EEENS1_22TernaryOpScalarFunctorIfLi3ELi2ELi2EEEJNS0_11LerpFunctorIfEEfEEEvT_T0_DpT1_,"axG",@progbits,_ZN2at6native12_GLOBAL__N_125multi_tensor_apply_kernelINS1_18TensorListMetadataILi3EEENS1_22TernaryOpScalarFunctorIfLi3ELi2ELi2EEEJNS0_11LerpFunctorIfEEfEEEvT_T0_DpT1_,comdat
.Lfunc_end13:
	.size	_ZN2at6native12_GLOBAL__N_125multi_tensor_apply_kernelINS1_18TensorListMetadataILi3EEENS1_22TernaryOpScalarFunctorIfLi3ELi2ELi2EEEJNS0_11LerpFunctorIfEEfEEEvT_T0_DpT1_, .Lfunc_end13-_ZN2at6native12_GLOBAL__N_125multi_tensor_apply_kernelINS1_18TensorListMetadataILi3EEENS1_22TernaryOpScalarFunctorIfLi3ELi2ELi2EEEJNS0_11LerpFunctorIfEEfEEEvT_T0_DpT1_
                                        ; -- End function
	.set _ZN2at6native12_GLOBAL__N_125multi_tensor_apply_kernelINS1_18TensorListMetadataILi3EEENS1_22TernaryOpScalarFunctorIfLi3ELi2ELi2EEEJNS0_11LerpFunctorIfEEfEEEvT_T0_DpT1_.num_vgpr, 46
	.set _ZN2at6native12_GLOBAL__N_125multi_tensor_apply_kernelINS1_18TensorListMetadataILi3EEENS1_22TernaryOpScalarFunctorIfLi3ELi2ELi2EEEJNS0_11LerpFunctorIfEEfEEEvT_T0_DpT1_.num_agpr, 0
	.set _ZN2at6native12_GLOBAL__N_125multi_tensor_apply_kernelINS1_18TensorListMetadataILi3EEENS1_22TernaryOpScalarFunctorIfLi3ELi2ELi2EEEJNS0_11LerpFunctorIfEEfEEEvT_T0_DpT1_.numbered_sgpr, 30
	.set _ZN2at6native12_GLOBAL__N_125multi_tensor_apply_kernelINS1_18TensorListMetadataILi3EEENS1_22TernaryOpScalarFunctorIfLi3ELi2ELi2EEEJNS0_11LerpFunctorIfEEfEEEvT_T0_DpT1_.num_named_barrier, 0
	.set _ZN2at6native12_GLOBAL__N_125multi_tensor_apply_kernelINS1_18TensorListMetadataILi3EEENS1_22TernaryOpScalarFunctorIfLi3ELi2ELi2EEEJNS0_11LerpFunctorIfEEfEEEvT_T0_DpT1_.private_seg_size, 0
	.set _ZN2at6native12_GLOBAL__N_125multi_tensor_apply_kernelINS1_18TensorListMetadataILi3EEENS1_22TernaryOpScalarFunctorIfLi3ELi2ELi2EEEJNS0_11LerpFunctorIfEEfEEEvT_T0_DpT1_.uses_vcc, 1
	.set _ZN2at6native12_GLOBAL__N_125multi_tensor_apply_kernelINS1_18TensorListMetadataILi3EEENS1_22TernaryOpScalarFunctorIfLi3ELi2ELi2EEEJNS0_11LerpFunctorIfEEfEEEvT_T0_DpT1_.uses_flat_scratch, 0
	.set _ZN2at6native12_GLOBAL__N_125multi_tensor_apply_kernelINS1_18TensorListMetadataILi3EEENS1_22TernaryOpScalarFunctorIfLi3ELi2ELi2EEEJNS0_11LerpFunctorIfEEfEEEvT_T0_DpT1_.has_dyn_sized_stack, 0
	.set _ZN2at6native12_GLOBAL__N_125multi_tensor_apply_kernelINS1_18TensorListMetadataILi3EEENS1_22TernaryOpScalarFunctorIfLi3ELi2ELi2EEEJNS0_11LerpFunctorIfEEfEEEvT_T0_DpT1_.has_recursion, 0
	.set _ZN2at6native12_GLOBAL__N_125multi_tensor_apply_kernelINS1_18TensorListMetadataILi3EEENS1_22TernaryOpScalarFunctorIfLi3ELi2ELi2EEEJNS0_11LerpFunctorIfEEfEEEvT_T0_DpT1_.has_indirect_call, 0
	.section	.AMDGPU.csdata,"",@progbits
; Kernel info:
; codeLenInByte = 1480
; TotalNumSgprs: 36
; NumVgprs: 46
; NumAgprs: 0
; TotalNumVgprs: 46
; ScratchSize: 0
; MemoryBound: 0
; FloatMode: 240
; IeeeMode: 1
; LDSByteSize: 0 bytes/workgroup (compile time only)
; SGPRBlocks: 4
; VGPRBlocks: 5
; NumSGPRsForWavesPerEU: 36
; NumVGPRsForWavesPerEU: 46
; AccumOffset: 48
; Occupancy: 8
; WaveLimiterHint : 0
; COMPUTE_PGM_RSRC2:SCRATCH_EN: 0
; COMPUTE_PGM_RSRC2:USER_SGPR: 2
; COMPUTE_PGM_RSRC2:TRAP_HANDLER: 0
; COMPUTE_PGM_RSRC2:TGID_X_EN: 1
; COMPUTE_PGM_RSRC2:TGID_Y_EN: 0
; COMPUTE_PGM_RSRC2:TGID_Z_EN: 0
; COMPUTE_PGM_RSRC2:TIDIG_COMP_CNT: 0
; COMPUTE_PGM_RSRC3_GFX90A:ACCUM_OFFSET: 11
; COMPUTE_PGM_RSRC3_GFX90A:TG_SPLIT: 0
	.section	.text._ZN2at6native12_GLOBAL__N_125multi_tensor_apply_kernelINS1_18TensorListMetadataILi3EEENS1_22TernaryOpScalarFunctorIN3c107complexIdEELi3ELi2ELi2EEEJNS0_11LerpFunctorIS8_EES8_EEEvT_T0_DpT1_,"axG",@progbits,_ZN2at6native12_GLOBAL__N_125multi_tensor_apply_kernelINS1_18TensorListMetadataILi3EEENS1_22TernaryOpScalarFunctorIN3c107complexIdEELi3ELi2ELi2EEEJNS0_11LerpFunctorIS8_EES8_EEEvT_T0_DpT1_,comdat
	.globl	_ZN2at6native12_GLOBAL__N_125multi_tensor_apply_kernelINS1_18TensorListMetadataILi3EEENS1_22TernaryOpScalarFunctorIN3c107complexIdEELi3ELi2ELi2EEEJNS0_11LerpFunctorIS8_EES8_EEEvT_T0_DpT1_ ; -- Begin function _ZN2at6native12_GLOBAL__N_125multi_tensor_apply_kernelINS1_18TensorListMetadataILi3EEENS1_22TernaryOpScalarFunctorIN3c107complexIdEELi3ELi2ELi2EEEJNS0_11LerpFunctorIS8_EES8_EEEvT_T0_DpT1_
	.p2align	8
	.type	_ZN2at6native12_GLOBAL__N_125multi_tensor_apply_kernelINS1_18TensorListMetadataILi3EEENS1_22TernaryOpScalarFunctorIN3c107complexIdEELi3ELi2ELi2EEEJNS0_11LerpFunctorIS8_EES8_EEEvT_T0_DpT1_,@function
_ZN2at6native12_GLOBAL__N_125multi_tensor_apply_kernelINS1_18TensorListMetadataILi3EEENS1_22TernaryOpScalarFunctorIN3c107complexIdEELi3ELi2ELi2EEEJNS0_11LerpFunctorIS8_EES8_EEEvT_T0_DpT1_: ; @_ZN2at6native12_GLOBAL__N_125multi_tensor_apply_kernelINS1_18TensorListMetadataILi3EEENS1_22TernaryOpScalarFunctorIN3c107complexIdEELi3ELi2ELi2EEEJNS0_11LerpFunctorIS8_EES8_EEEvT_T0_DpT1_
; %bb.0:
	v_mov_b32_e32 v1, s2
	global_load_ubyte v1, v1, s[0:1] offset:1536
	s_add_u32 s3, s0, s2
	s_mul_hi_u32 s4, s2, 3
	s_mul_i32 s2, s2, 3
	s_addc_u32 s5, s1, 0
	s_add_u32 s2, s3, s2
	s_addc_u32 s3, s5, s4
	s_load_dword s4, s[2:3], 0x740
	s_load_dwordx4 s[12:15], s[0:1], 0xc50
	s_mov_b32 s3, 0
	s_mov_b32 s9, s3
	s_waitcnt lgkmcnt(0)
	s_ashr_i32 s5, s4, 31
	s_lshl_b64 s[10:11], s[4:5], 20
	s_waitcnt vmcnt(0)
	v_readfirstlane_b32 s2, v1
	s_lshl_b32 s2, s2, 3
	s_load_dwordx2 s[6:7], s[0:1], s2 offset:0x0
	s_load_dwordx2 s[18:19], s[0:1], s2 offset:0x180
	;; [unrolled: 1-line block ×4, first 2 shown]
	s_waitcnt lgkmcnt(0)
	s_add_u32 s16, s6, s10
	s_addc_u32 s17, s7, s11
	s_add_u32 s18, s18, s10
	s_addc_u32 s19, s19, s11
	;; [unrolled: 2-line block ×3, first 2 shown]
	s_or_b32 s6, s20, s18
	s_lshl_b64 s[4:5], s[4:5], 16
	s_and_b32 s2, s16, 63
	s_and_b32 s6, s6, 63
	s_cmp_lg_u32 s6, 0
	s_cselect_b64 s[10:11], -1, 0
	s_sub_u32 s6, s22, s4
	s_subb_u32 s7, s23, s5
	s_and_b32 s8, s22, 3
	s_or_b64 s[2:3], s[2:3], s[8:9]
	s_cmp_lg_u64 s[2:3], 0
	s_cselect_b64 s[2:3], -1, 0
	s_or_b64 s[2:3], s[10:11], s[2:3]
	s_andn2_b64 vcc, exec, s[2:3]
	s_mov_b64 s[2:3], -1
	s_cbranch_vccz .LBB14_21
; %bb.1:
	v_mov_b64_e32 v[2:3], 0x10000
	v_cmp_lt_i64_e32 vcc, s[6:7], v[2:3]
	s_and_b64 s[2:3], vcc, exec
	v_mov_b32_e32 v39, 0
	s_cselect_b32 s9, s7, 0
	s_cselect_b32 s8, s6, 0x10000
	v_lshlrev_b32_e32 v38, 2, v0
	v_cmp_gt_i64_e32 vcc, s[8:9], v[38:39]
	s_and_saveexec_b64 s[10:11], vcc
	s_cbranch_execz .LBB14_20
; %bb.2:
	s_load_dword s4, s[0:1], 0xc6c
	v_mul_f64 v[2:3], s[14:15], s[14:15]
	s_mov_b32 s2, 0
	v_mov_b32_e32 v1, v39
	v_fmac_f64_e64 v[2:3], s[12:13], s[12:13]
	s_mov_b32 s3, 0x3fd00000
	s_waitcnt lgkmcnt(0)
	s_and_b32 s24, s4, 0xffff
	v_cmp_ngt_f64_e64 s[2:3], s[2:3], v[2:3]
	v_add_f64 v[40:41], -s[12:13], 1.0
	s_mov_b64 s[22:23], 0
	v_add_f64 v[42:43], -s[14:15], 0
	s_mov_b32 s25, 0
	v_lshlrev_b32_e32 v38, 6, v0
	s_lshl_b32 s33, s24, 6
	s_mov_b64 s[26:27], s[18:19]
	s_mov_b64 s[28:29], s[16:17]
	;; [unrolled: 1-line block ×3, first 2 shown]
	v_mov_b64_e32 v[44:45], v[0:1]
	s_branch .LBB14_4
.LBB14_3:                               ;   in Loop: Header=BB14_4 Depth=1
	v_lshl_add_u64 v[2:3], s[30:31], 0, v[38:39]
	s_add_u32 s30, s30, s33
	s_addc_u32 s31, s31, 0
	s_add_u32 s28, s28, s33
	v_lshl_add_u64 v[44:45], v[44:45], 0, s[24:25]
	s_addc_u32 s29, s29, 0
	v_lshlrev_b64 v[4:5], 2, v[44:45]
	s_add_u32 s26, s26, s33
	s_addc_u32 s27, s27, 0
	v_cmp_le_i64_e32 vcc, s[8:9], v[4:5]
	s_or_b64 s[22:23], vcc, s[22:23]
	global_store_dwordx4 v[2:3], v[6:9], off
	global_store_dwordx4 v[2:3], v[18:21], off offset:16
	global_store_dwordx4 v[2:3], v[26:29], off offset:32
	;; [unrolled: 1-line block ×3, first 2 shown]
	s_andn2_b64 exec, exec, s[22:23]
	s_cbranch_execz .LBB14_20
.LBB14_4:                               ; =>This Inner Loop Header: Depth=1
	v_lshl_add_u64 v[6:7], s[28:29], 0, v[38:39]
	global_load_dwordx4 v[26:29], v[6:7], off offset:16
	global_load_dwordx4 v[18:21], v[6:7], off
	v_lshl_add_u64 v[8:9], s[26:27], 0, v[38:39]
	global_load_dwordx4 v[30:33], v[8:9], off offset:16
	global_load_dwordx4 v[34:37], v[8:9], off
	global_load_dwordx4 v[2:5], v[6:7], off offset:48
	global_load_dwordx4 v[14:17], v[6:7], off offset:32
	global_load_dwordx4 v[10:13], v[8:9], off offset:48
	global_load_dwordx4 v[22:25], v[8:9], off offset:32
	s_mov_b64 s[4:5], -1
	s_and_b64 vcc, exec, s[2:3]
                                        ; implicit-def: $vgpr8_vgpr9
	s_waitcnt vmcnt(4)
	v_add_f64 v[46:47], v[34:35], -v[18:19]
	v_add_f64 v[48:49], v[36:37], -v[20:21]
	s_cbranch_vccz .LBB14_6
; %bb.5:                                ;   in Loop: Header=BB14_4 Depth=1
	v_mul_f64 v[6:7], v[42:43], v[48:49]
	v_mul_f64 v[8:9], v[40:41], v[48:49]
	v_fma_f64 v[6:7], v[40:41], v[46:47], -v[6:7]
	v_fmac_f64_e32 v[8:9], v[42:43], v[46:47]
	v_add_f64 v[6:7], v[34:35], -v[6:7]
	v_add_f64 v[8:9], v[36:37], -v[8:9]
	s_mov_b64 s[4:5], 0
.LBB14_6:                               ;   in Loop: Header=BB14_4 Depth=1
	s_andn2_b64 vcc, exec, s[4:5]
	s_cbranch_vccnz .LBB14_8
; %bb.7:                                ;   in Loop: Header=BB14_4 Depth=1
	v_mul_f64 v[6:7], s[14:15], v[48:49]
	v_mul_f64 v[8:9], s[12:13], v[48:49]
	v_fma_f64 v[6:7], s[12:13], v[46:47], -v[6:7]
	v_fmac_f64_e32 v[8:9], s[14:15], v[46:47]
	v_add_f64 v[6:7], v[18:19], v[6:7]
	v_add_f64 v[8:9], v[20:21], v[8:9]
.LBB14_8:                               ;   in Loop: Header=BB14_4 Depth=1
	v_cndmask_b32_e64 v1, 0, 1, s[2:3]
	v_add_f64 v[34:35], v[30:31], -v[26:27]
	v_add_f64 v[36:37], v[32:33], -v[28:29]
	v_cmp_ne_u32_e64 s[4:5], 1, v1
	s_andn2_b64 vcc, exec, s[2:3]
	s_mov_b64 s[34:35], -1
                                        ; implicit-def: $vgpr20_vgpr21
	s_cbranch_vccnz .LBB14_10
; %bb.9:                                ;   in Loop: Header=BB14_4 Depth=1
	v_mul_f64 v[18:19], v[42:43], v[36:37]
	v_mul_f64 v[20:21], v[40:41], v[36:37]
	v_fma_f64 v[18:19], v[40:41], v[34:35], -v[18:19]
	v_fmac_f64_e32 v[20:21], v[42:43], v[34:35]
	v_add_f64 v[18:19], v[30:31], -v[18:19]
	v_add_f64 v[20:21], v[32:33], -v[20:21]
	s_mov_b64 s[34:35], 0
.LBB14_10:                              ;   in Loop: Header=BB14_4 Depth=1
	s_andn2_b64 vcc, exec, s[34:35]
	s_cbranch_vccnz .LBB14_12
; %bb.11:                               ;   in Loop: Header=BB14_4 Depth=1
	v_mul_f64 v[18:19], s[14:15], v[36:37]
	v_mul_f64 v[20:21], s[12:13], v[36:37]
	v_fma_f64 v[18:19], s[12:13], v[34:35], -v[18:19]
	v_fmac_f64_e32 v[20:21], s[14:15], v[34:35]
	v_add_f64 v[18:19], v[26:27], v[18:19]
	v_add_f64 v[20:21], v[28:29], v[20:21]
.LBB14_12:                              ;   in Loop: Header=BB14_4 Depth=1
	s_waitcnt vmcnt(0)
	v_add_f64 v[30:31], v[22:23], -v[14:15]
	v_add_f64 v[32:33], v[24:25], -v[16:17]
	s_and_b64 vcc, exec, s[4:5]
	s_mov_b64 s[34:35], -1
                                        ; implicit-def: $vgpr28_vgpr29
	s_cbranch_vccnz .LBB14_14
; %bb.13:                               ;   in Loop: Header=BB14_4 Depth=1
	v_mul_f64 v[26:27], v[42:43], v[32:33]
	v_mul_f64 v[28:29], v[40:41], v[32:33]
	v_fma_f64 v[26:27], v[40:41], v[30:31], -v[26:27]
	v_fmac_f64_e32 v[28:29], v[42:43], v[30:31]
	v_add_f64 v[26:27], v[22:23], -v[26:27]
	v_add_f64 v[28:29], v[24:25], -v[28:29]
	s_mov_b64 s[34:35], 0
.LBB14_14:                              ;   in Loop: Header=BB14_4 Depth=1
	s_andn2_b64 vcc, exec, s[34:35]
	s_cbranch_vccnz .LBB14_16
; %bb.15:                               ;   in Loop: Header=BB14_4 Depth=1
	v_mul_f64 v[22:23], s[14:15], v[32:33]
	v_mul_f64 v[24:25], s[12:13], v[32:33]
	v_fma_f64 v[22:23], s[12:13], v[30:31], -v[22:23]
	v_fmac_f64_e32 v[24:25], s[14:15], v[30:31]
	v_add_f64 v[26:27], v[14:15], v[22:23]
	v_add_f64 v[28:29], v[16:17], v[24:25]
.LBB14_16:                              ;   in Loop: Header=BB14_4 Depth=1
	v_add_f64 v[22:23], v[10:11], -v[2:3]
	v_add_f64 v[24:25], v[12:13], -v[4:5]
	s_and_b64 vcc, exec, s[4:5]
	s_mov_b64 s[4:5], -1
                                        ; implicit-def: $vgpr16_vgpr17
	s_cbranch_vccnz .LBB14_18
; %bb.17:                               ;   in Loop: Header=BB14_4 Depth=1
	v_mul_f64 v[14:15], v[42:43], v[24:25]
	v_mul_f64 v[16:17], v[40:41], v[24:25]
	v_fma_f64 v[14:15], v[40:41], v[22:23], -v[14:15]
	v_fmac_f64_e32 v[16:17], v[42:43], v[22:23]
	v_add_f64 v[14:15], v[10:11], -v[14:15]
	v_add_f64 v[16:17], v[12:13], -v[16:17]
	s_mov_b64 s[4:5], 0
.LBB14_18:                              ;   in Loop: Header=BB14_4 Depth=1
	s_andn2_b64 vcc, exec, s[4:5]
	s_cbranch_vccnz .LBB14_3
; %bb.19:                               ;   in Loop: Header=BB14_4 Depth=1
	v_mul_f64 v[10:11], s[14:15], v[24:25]
	v_mul_f64 v[12:13], s[12:13], v[24:25]
	v_fma_f64 v[10:11], s[12:13], v[22:23], -v[10:11]
	v_fmac_f64_e32 v[12:13], s[14:15], v[22:23]
	v_add_f64 v[14:15], v[2:3], v[10:11]
	v_add_f64 v[16:17], v[4:5], v[12:13]
	s_branch .LBB14_3
.LBB14_20:
	s_or_b64 exec, exec, s[10:11]
	s_mov_b64 s[2:3], 0
.LBB14_21:
	s_andn2_b64 vcc, exec, s[2:3]
	s_cbranch_vccnz .LBB14_57
; %bb.22:
	v_cmp_lt_i64_e64 s[2:3], s[6:7], 1
	s_and_b64 vcc, exec, s[2:3]
	s_cbranch_vccnz .LBB14_57
; %bb.23:
	s_load_dword s2, s[0:1], 0xc6c
	v_mov_b64_e32 v[2:3], 0x10000
	v_cmp_lt_i64_e32 vcc, s[6:7], v[2:3]
	s_and_b64 s[0:1], vcc, exec
	s_cselect_b32 s25, s7, 0
	s_cselect_b32 s24, s6, 0x10000
	s_waitcnt lgkmcnt(0)
	s_and_b32 s22, s2, 0xffff
	v_cmp_lt_u64_e32 vcc, s[6:7], v[2:3]
	s_and_b64 s[0:1], vcc, exec
	v_mul_f64 v[2:3], s[14:15], s[14:15]
	s_mov_b32 s0, 0
	s_mov_b32 s23, 0
	v_fmac_f64_e64 v[2:3], s[12:13], s[12:13]
	s_mov_b32 s1, 0x3fd00000
	v_mov_b32_e32 v1, 0
	s_cselect_b32 s27, s7, 0
	s_cselect_b32 s26, s6, 0x10000
	s_lshl_b32 s28, s22, 1
	s_mov_b32 s29, s23
	s_mul_i32 s30, s22, 3
	s_mov_b32 s31, s23
	v_cmp_ngt_f64_e64 s[0:1], s[0:1], v[2:3]
	v_add_f64 v[38:39], -s[12:13], 1.0
	s_mov_b64 s[34:35], 0
	v_add_f64 v[40:41], -s[14:15], 0
	s_lshl_b32 s33, s22, 2
	s_branch .LBB14_25
.LBB14_24:                              ;   in Loop: Header=BB14_25 Depth=1
	s_or_b64 exec, exec, s[2:3]
	s_add_u32 s34, s34, s33
	s_addc_u32 s35, s35, 0
	v_mov_b64_e32 v[2:3], s[24:25]
	v_cmp_ge_i64_e32 vcc, s[34:35], v[2:3]
	s_cbranch_vccnz .LBB14_57
.LBB14_25:                              ; =>This Inner Loop Header: Depth=1
	v_lshl_add_u64 v[42:43], s[34:35], 0, v[0:1]
	v_cmp_gt_u64_e64 s[2:3], s[26:27], v[42:43]
	v_mov_b64_e32 v[8:9], 0
	v_mov_b64_e32 v[36:37], 0
	;; [unrolled: 1-line block ×5, first 2 shown]
	s_and_saveexec_b64 s[4:5], s[2:3]
	s_cbranch_execz .LBB14_27
; %bb.26:                               ;   in Loop: Header=BB14_25 Depth=1
	v_lshlrev_b64 v[2:3], 4, v[42:43]
	v_lshl_add_u64 v[4:5], s[18:19], 0, v[2:3]
	v_lshl_add_u64 v[2:3], s[16:17], 0, v[2:3]
	global_load_dwordx4 v[22:25], v[2:3], off
	global_load_dwordx4 v[34:37], v[4:5], off
.LBB14_27:                              ;   in Loop: Header=BB14_25 Depth=1
	s_or_b64 exec, exec, s[4:5]
	v_lshl_add_u64 v[44:45], v[42:43], 0, s[22:23]
	v_cmp_gt_u64_e64 s[4:5], s[26:27], v[44:45]
	v_mov_b64_e32 v[6:7], 0
	v_mov_b64_e32 v[20:21], 0
	;; [unrolled: 1-line block ×3, first 2 shown]
	s_and_saveexec_b64 s[6:7], s[4:5]
	s_cbranch_execz .LBB14_29
; %bb.28:                               ;   in Loop: Header=BB14_25 Depth=1
	v_lshlrev_b64 v[2:3], 4, v[44:45]
	v_lshl_add_u64 v[4:5], s[18:19], 0, v[2:3]
	v_lshl_add_u64 v[2:3], s[16:17], 0, v[2:3]
	global_load_dwordx4 v[18:21], v[2:3], off
	global_load_dwordx4 v[6:9], v[4:5], off
.LBB14_29:                              ;   in Loop: Header=BB14_25 Depth=1
	s_or_b64 exec, exec, s[6:7]
	v_lshl_add_u64 v[46:47], v[42:43], 0, s[28:29]
	v_cmp_gt_u64_e64 s[6:7], s[26:27], v[46:47]
	v_mov_b64_e32 v[4:5], 0
	v_mov_b64_e32 v[32:33], 0
	;; [unrolled: 1-line block ×5, first 2 shown]
	s_and_saveexec_b64 s[8:9], s[6:7]
	s_cbranch_execz .LBB14_31
; %bb.30:                               ;   in Loop: Header=BB14_25 Depth=1
	v_lshlrev_b64 v[2:3], 4, v[46:47]
	v_lshl_add_u64 v[10:11], s[18:19], 0, v[2:3]
	v_lshl_add_u64 v[2:3], s[16:17], 0, v[2:3]
	global_load_dwordx4 v[14:17], v[2:3], off
	global_load_dwordx4 v[30:33], v[10:11], off
.LBB14_31:                              ;   in Loop: Header=BB14_25 Depth=1
	s_or_b64 exec, exec, s[8:9]
	v_lshl_add_u64 v[48:49], v[42:43], 0, s[30:31]
	v_cmp_gt_u64_e64 s[8:9], s[26:27], v[48:49]
	v_mov_b64_e32 v[2:3], 0
	v_mov_b64_e32 v[12:13], 0
	;; [unrolled: 1-line block ×3, first 2 shown]
	s_and_saveexec_b64 s[10:11], s[8:9]
	s_cbranch_execz .LBB14_33
; %bb.32:                               ;   in Loop: Header=BB14_25 Depth=1
	v_lshlrev_b64 v[2:3], 4, v[48:49]
	v_lshl_add_u64 v[28:29], s[16:17], 0, v[2:3]
	v_lshl_add_u64 v[26:27], s[18:19], 0, v[2:3]
	global_load_dwordx4 v[10:13], v[28:29], off
	global_load_dwordx4 v[2:5], v[26:27], off
.LBB14_33:                              ;   in Loop: Header=BB14_25 Depth=1
	s_or_b64 exec, exec, s[10:11]
	s_waitcnt vmcnt(0)
	v_add_f64 v[52:53], v[34:35], -v[22:23]
	v_add_f64 v[50:51], v[36:37], -v[24:25]
	s_mov_b64 s[10:11], -1
	s_and_b64 vcc, exec, s[0:1]
                                        ; implicit-def: $vgpr28_vgpr29
	s_cbranch_vccz .LBB14_35
; %bb.34:                               ;   in Loop: Header=BB14_25 Depth=1
	v_mul_f64 v[26:27], v[40:41], v[50:51]
	v_mul_f64 v[28:29], v[40:41], v[52:53]
	v_fma_f64 v[26:27], v[38:39], v[52:53], -v[26:27]
	v_fmac_f64_e32 v[28:29], v[38:39], v[50:51]
	v_add_f64 v[26:27], v[34:35], -v[26:27]
	v_add_f64 v[28:29], v[36:37], -v[28:29]
	s_mov_b64 s[10:11], 0
.LBB14_35:                              ;   in Loop: Header=BB14_25 Depth=1
	s_andn2_b64 vcc, exec, s[10:11]
	s_cbranch_vccnz .LBB14_37
; %bb.36:                               ;   in Loop: Header=BB14_25 Depth=1
	v_mul_f64 v[26:27], s[14:15], v[50:51]
	v_mul_f64 v[28:29], s[14:15], v[52:53]
	v_fma_f64 v[26:27], s[12:13], v[52:53], -v[26:27]
	v_fmac_f64_e32 v[28:29], s[12:13], v[50:51]
	v_add_f64 v[26:27], v[22:23], v[26:27]
	v_add_f64 v[28:29], v[24:25], v[28:29]
.LBB14_37:                              ;   in Loop: Header=BB14_25 Depth=1
	v_cndmask_b32_e64 v22, 0, 1, s[0:1]
	v_add_f64 v[36:37], v[6:7], -v[18:19]
	v_add_f64 v[34:35], v[8:9], -v[20:21]
	v_cmp_ne_u32_e64 s[10:11], 1, v22
	s_andn2_b64 vcc, exec, s[0:1]
	s_mov_b64 s[36:37], -1
                                        ; implicit-def: $vgpr24_vgpr25
	s_cbranch_vccnz .LBB14_39
; %bb.38:                               ;   in Loop: Header=BB14_25 Depth=1
	v_mul_f64 v[22:23], v[40:41], v[34:35]
	v_mul_f64 v[24:25], v[40:41], v[36:37]
	v_fma_f64 v[22:23], v[38:39], v[36:37], -v[22:23]
	v_fmac_f64_e32 v[24:25], v[38:39], v[34:35]
	v_add_f64 v[22:23], v[6:7], -v[22:23]
	v_add_f64 v[24:25], v[8:9], -v[24:25]
	s_mov_b64 s[36:37], 0
.LBB14_39:                              ;   in Loop: Header=BB14_25 Depth=1
	s_andn2_b64 vcc, exec, s[36:37]
	s_cbranch_vccnz .LBB14_41
; %bb.40:                               ;   in Loop: Header=BB14_25 Depth=1
	v_mul_f64 v[6:7], s[14:15], v[34:35]
	v_mul_f64 v[8:9], s[14:15], v[36:37]
	v_fma_f64 v[6:7], s[12:13], v[36:37], -v[6:7]
	v_fmac_f64_e32 v[8:9], s[12:13], v[34:35]
	v_add_f64 v[22:23], v[18:19], v[6:7]
	v_add_f64 v[24:25], v[20:21], v[8:9]
.LBB14_41:                              ;   in Loop: Header=BB14_25 Depth=1
	v_add_f64 v[20:21], v[30:31], -v[14:15]
	v_add_f64 v[18:19], v[32:33], -v[16:17]
	s_and_b64 vcc, exec, s[10:11]
	s_mov_b64 s[36:37], -1
                                        ; implicit-def: $vgpr8_vgpr9
	s_cbranch_vccnz .LBB14_43
; %bb.42:                               ;   in Loop: Header=BB14_25 Depth=1
	v_mul_f64 v[6:7], v[40:41], v[18:19]
	v_mul_f64 v[8:9], v[40:41], v[20:21]
	v_fma_f64 v[6:7], v[38:39], v[20:21], -v[6:7]
	v_fmac_f64_e32 v[8:9], v[38:39], v[18:19]
	v_add_f64 v[6:7], v[30:31], -v[6:7]
	v_add_f64 v[8:9], v[32:33], -v[8:9]
	s_mov_b64 s[36:37], 0
.LBB14_43:                              ;   in Loop: Header=BB14_25 Depth=1
	s_andn2_b64 vcc, exec, s[36:37]
	s_cbranch_vccnz .LBB14_45
; %bb.44:                               ;   in Loop: Header=BB14_25 Depth=1
	v_mul_f64 v[6:7], s[14:15], v[18:19]
	v_mul_f64 v[8:9], s[14:15], v[20:21]
	v_fma_f64 v[6:7], s[12:13], v[20:21], -v[6:7]
	v_fmac_f64_e32 v[8:9], s[12:13], v[18:19]
	v_add_f64 v[6:7], v[14:15], v[6:7]
	v_add_f64 v[8:9], v[16:17], v[8:9]
.LBB14_45:                              ;   in Loop: Header=BB14_25 Depth=1
	v_add_f64 v[20:21], v[2:3], -v[10:11]
	v_add_f64 v[18:19], v[4:5], -v[12:13]
	s_and_b64 vcc, exec, s[10:11]
	s_mov_b64 s[10:11], -1
                                        ; implicit-def: $vgpr16_vgpr17
	s_cbranch_vccz .LBB14_51
; %bb.46:                               ;   in Loop: Header=BB14_25 Depth=1
	s_andn2_b64 vcc, exec, s[10:11]
	s_cbranch_vccz .LBB14_52
.LBB14_47:                              ;   in Loop: Header=BB14_25 Depth=1
	s_and_saveexec_b64 s[10:11], s[2:3]
	s_xor_b64 s[2:3], exec, s[10:11]
	s_cbranch_execnz .LBB14_53
.LBB14_48:                              ;   in Loop: Header=BB14_25 Depth=1
	s_or_b64 exec, exec, s[2:3]
	s_and_saveexec_b64 s[2:3], s[4:5]
	s_cbranch_execnz .LBB14_54
.LBB14_49:                              ;   in Loop: Header=BB14_25 Depth=1
	s_or_b64 exec, exec, s[2:3]
	s_and_saveexec_b64 s[2:3], s[6:7]
	s_cbranch_execnz .LBB14_55
.LBB14_50:                              ;   in Loop: Header=BB14_25 Depth=1
	s_or_b64 exec, exec, s[2:3]
	s_and_saveexec_b64 s[2:3], s[8:9]
	s_cbranch_execz .LBB14_24
	s_branch .LBB14_56
.LBB14_51:                              ;   in Loop: Header=BB14_25 Depth=1
	v_mul_f64 v[14:15], v[40:41], v[18:19]
	v_mul_f64 v[16:17], v[40:41], v[20:21]
	v_fma_f64 v[14:15], v[38:39], v[20:21], -v[14:15]
	v_fmac_f64_e32 v[16:17], v[38:39], v[18:19]
	v_add_f64 v[14:15], v[2:3], -v[14:15]
	v_add_f64 v[16:17], v[4:5], -v[16:17]
	s_cbranch_execnz .LBB14_47
.LBB14_52:                              ;   in Loop: Header=BB14_25 Depth=1
	v_mul_f64 v[2:3], s[14:15], v[18:19]
	v_mul_f64 v[4:5], s[14:15], v[20:21]
	v_fma_f64 v[2:3], s[12:13], v[20:21], -v[2:3]
	v_fmac_f64_e32 v[4:5], s[12:13], v[18:19]
	v_add_f64 v[14:15], v[10:11], v[2:3]
	v_add_f64 v[16:17], v[12:13], v[4:5]
	s_and_saveexec_b64 s[10:11], s[2:3]
	s_xor_b64 s[2:3], exec, s[10:11]
	s_cbranch_execz .LBB14_48
.LBB14_53:                              ;   in Loop: Header=BB14_25 Depth=1
	v_lshl_add_u64 v[2:3], v[42:43], 4, s[20:21]
	global_store_dwordx4 v[2:3], v[26:29], off
	s_or_b64 exec, exec, s[2:3]
	s_and_saveexec_b64 s[2:3], s[4:5]
	s_cbranch_execz .LBB14_49
.LBB14_54:                              ;   in Loop: Header=BB14_25 Depth=1
	v_lshl_add_u64 v[2:3], v[44:45], 4, s[20:21]
	global_store_dwordx4 v[2:3], v[22:25], off
	s_or_b64 exec, exec, s[2:3]
	s_and_saveexec_b64 s[2:3], s[6:7]
	s_cbranch_execz .LBB14_50
.LBB14_55:                              ;   in Loop: Header=BB14_25 Depth=1
	v_lshl_add_u64 v[2:3], v[46:47], 4, s[20:21]
	global_store_dwordx4 v[2:3], v[6:9], off
	s_or_b64 exec, exec, s[2:3]
	s_and_saveexec_b64 s[2:3], s[8:9]
	s_cbranch_execz .LBB14_24
.LBB14_56:                              ;   in Loop: Header=BB14_25 Depth=1
	v_lshl_add_u64 v[2:3], v[48:49], 4, s[20:21]
	global_store_dwordx4 v[2:3], v[14:17], off
	s_branch .LBB14_24
.LBB14_57:
	s_endpgm
	.section	.rodata,"a",@progbits
	.p2align	6, 0x0
	.amdhsa_kernel _ZN2at6native12_GLOBAL__N_125multi_tensor_apply_kernelINS1_18TensorListMetadataILi3EEENS1_22TernaryOpScalarFunctorIN3c107complexIdEELi3ELi2ELi2EEEJNS0_11LerpFunctorIS8_EES8_EEEvT_T0_DpT1_
		.amdhsa_group_segment_fixed_size 0
		.amdhsa_private_segment_fixed_size 0
		.amdhsa_kernarg_size 3424
		.amdhsa_user_sgpr_count 2
		.amdhsa_user_sgpr_dispatch_ptr 0
		.amdhsa_user_sgpr_queue_ptr 0
		.amdhsa_user_sgpr_kernarg_segment_ptr 1
		.amdhsa_user_sgpr_dispatch_id 0
		.amdhsa_user_sgpr_kernarg_preload_length 0
		.amdhsa_user_sgpr_kernarg_preload_offset 0
		.amdhsa_user_sgpr_private_segment_size 0
		.amdhsa_uses_dynamic_stack 0
		.amdhsa_enable_private_segment 0
		.amdhsa_system_sgpr_workgroup_id_x 1
		.amdhsa_system_sgpr_workgroup_id_y 0
		.amdhsa_system_sgpr_workgroup_id_z 0
		.amdhsa_system_sgpr_workgroup_info 0
		.amdhsa_system_vgpr_workitem_id 0
		.amdhsa_next_free_vgpr 54
		.amdhsa_next_free_sgpr 38
		.amdhsa_accum_offset 56
		.amdhsa_reserve_vcc 1
		.amdhsa_float_round_mode_32 0
		.amdhsa_float_round_mode_16_64 0
		.amdhsa_float_denorm_mode_32 3
		.amdhsa_float_denorm_mode_16_64 3
		.amdhsa_dx10_clamp 1
		.amdhsa_ieee_mode 1
		.amdhsa_fp16_overflow 0
		.amdhsa_tg_split 0
		.amdhsa_exception_fp_ieee_invalid_op 0
		.amdhsa_exception_fp_denorm_src 0
		.amdhsa_exception_fp_ieee_div_zero 0
		.amdhsa_exception_fp_ieee_overflow 0
		.amdhsa_exception_fp_ieee_underflow 0
		.amdhsa_exception_fp_ieee_inexact 0
		.amdhsa_exception_int_div_zero 0
	.end_amdhsa_kernel
	.section	.text._ZN2at6native12_GLOBAL__N_125multi_tensor_apply_kernelINS1_18TensorListMetadataILi3EEENS1_22TernaryOpScalarFunctorIN3c107complexIdEELi3ELi2ELi2EEEJNS0_11LerpFunctorIS8_EES8_EEEvT_T0_DpT1_,"axG",@progbits,_ZN2at6native12_GLOBAL__N_125multi_tensor_apply_kernelINS1_18TensorListMetadataILi3EEENS1_22TernaryOpScalarFunctorIN3c107complexIdEELi3ELi2ELi2EEEJNS0_11LerpFunctorIS8_EES8_EEEvT_T0_DpT1_,comdat
.Lfunc_end14:
	.size	_ZN2at6native12_GLOBAL__N_125multi_tensor_apply_kernelINS1_18TensorListMetadataILi3EEENS1_22TernaryOpScalarFunctorIN3c107complexIdEELi3ELi2ELi2EEEJNS0_11LerpFunctorIS8_EES8_EEEvT_T0_DpT1_, .Lfunc_end14-_ZN2at6native12_GLOBAL__N_125multi_tensor_apply_kernelINS1_18TensorListMetadataILi3EEENS1_22TernaryOpScalarFunctorIN3c107complexIdEELi3ELi2ELi2EEEJNS0_11LerpFunctorIS8_EES8_EEEvT_T0_DpT1_
                                        ; -- End function
	.set _ZN2at6native12_GLOBAL__N_125multi_tensor_apply_kernelINS1_18TensorListMetadataILi3EEENS1_22TernaryOpScalarFunctorIN3c107complexIdEELi3ELi2ELi2EEEJNS0_11LerpFunctorIS8_EES8_EEEvT_T0_DpT1_.num_vgpr, 54
	.set _ZN2at6native12_GLOBAL__N_125multi_tensor_apply_kernelINS1_18TensorListMetadataILi3EEENS1_22TernaryOpScalarFunctorIN3c107complexIdEELi3ELi2ELi2EEEJNS0_11LerpFunctorIS8_EES8_EEEvT_T0_DpT1_.num_agpr, 0
	.set _ZN2at6native12_GLOBAL__N_125multi_tensor_apply_kernelINS1_18TensorListMetadataILi3EEENS1_22TernaryOpScalarFunctorIN3c107complexIdEELi3ELi2ELi2EEEJNS0_11LerpFunctorIS8_EES8_EEEvT_T0_DpT1_.numbered_sgpr, 38
	.set _ZN2at6native12_GLOBAL__N_125multi_tensor_apply_kernelINS1_18TensorListMetadataILi3EEENS1_22TernaryOpScalarFunctorIN3c107complexIdEELi3ELi2ELi2EEEJNS0_11LerpFunctorIS8_EES8_EEEvT_T0_DpT1_.num_named_barrier, 0
	.set _ZN2at6native12_GLOBAL__N_125multi_tensor_apply_kernelINS1_18TensorListMetadataILi3EEENS1_22TernaryOpScalarFunctorIN3c107complexIdEELi3ELi2ELi2EEEJNS0_11LerpFunctorIS8_EES8_EEEvT_T0_DpT1_.private_seg_size, 0
	.set _ZN2at6native12_GLOBAL__N_125multi_tensor_apply_kernelINS1_18TensorListMetadataILi3EEENS1_22TernaryOpScalarFunctorIN3c107complexIdEELi3ELi2ELi2EEEJNS0_11LerpFunctorIS8_EES8_EEEvT_T0_DpT1_.uses_vcc, 1
	.set _ZN2at6native12_GLOBAL__N_125multi_tensor_apply_kernelINS1_18TensorListMetadataILi3EEENS1_22TernaryOpScalarFunctorIN3c107complexIdEELi3ELi2ELi2EEEJNS0_11LerpFunctorIS8_EES8_EEEvT_T0_DpT1_.uses_flat_scratch, 0
	.set _ZN2at6native12_GLOBAL__N_125multi_tensor_apply_kernelINS1_18TensorListMetadataILi3EEENS1_22TernaryOpScalarFunctorIN3c107complexIdEELi3ELi2ELi2EEEJNS0_11LerpFunctorIS8_EES8_EEEvT_T0_DpT1_.has_dyn_sized_stack, 0
	.set _ZN2at6native12_GLOBAL__N_125multi_tensor_apply_kernelINS1_18TensorListMetadataILi3EEENS1_22TernaryOpScalarFunctorIN3c107complexIdEELi3ELi2ELi2EEEJNS0_11LerpFunctorIS8_EES8_EEEvT_T0_DpT1_.has_recursion, 0
	.set _ZN2at6native12_GLOBAL__N_125multi_tensor_apply_kernelINS1_18TensorListMetadataILi3EEENS1_22TernaryOpScalarFunctorIN3c107complexIdEELi3ELi2ELi2EEEJNS0_11LerpFunctorIS8_EES8_EEEvT_T0_DpT1_.has_indirect_call, 0
	.section	.AMDGPU.csdata,"",@progbits
; Kernel info:
; codeLenInByte = 2336
; TotalNumSgprs: 44
; NumVgprs: 54
; NumAgprs: 0
; TotalNumVgprs: 54
; ScratchSize: 0
; MemoryBound: 1
; FloatMode: 240
; IeeeMode: 1
; LDSByteSize: 0 bytes/workgroup (compile time only)
; SGPRBlocks: 5
; VGPRBlocks: 6
; NumSGPRsForWavesPerEU: 44
; NumVGPRsForWavesPerEU: 54
; AccumOffset: 56
; Occupancy: 8
; WaveLimiterHint : 0
; COMPUTE_PGM_RSRC2:SCRATCH_EN: 0
; COMPUTE_PGM_RSRC2:USER_SGPR: 2
; COMPUTE_PGM_RSRC2:TRAP_HANDLER: 0
; COMPUTE_PGM_RSRC2:TGID_X_EN: 1
; COMPUTE_PGM_RSRC2:TGID_Y_EN: 0
; COMPUTE_PGM_RSRC2:TGID_Z_EN: 0
; COMPUTE_PGM_RSRC2:TIDIG_COMP_CNT: 0
; COMPUTE_PGM_RSRC3_GFX90A:ACCUM_OFFSET: 13
; COMPUTE_PGM_RSRC3_GFX90A:TG_SPLIT: 0
	.section	.text._ZN2at6native12_GLOBAL__N_125multi_tensor_apply_kernelINS1_18TensorListMetadataILi3EEENS1_22TernaryOpScalarFunctorIN3c107complexIfEELi3ELi2ELi2EEEJNS0_11LerpFunctorIS8_EES8_EEEvT_T0_DpT1_,"axG",@progbits,_ZN2at6native12_GLOBAL__N_125multi_tensor_apply_kernelINS1_18TensorListMetadataILi3EEENS1_22TernaryOpScalarFunctorIN3c107complexIfEELi3ELi2ELi2EEEJNS0_11LerpFunctorIS8_EES8_EEEvT_T0_DpT1_,comdat
	.globl	_ZN2at6native12_GLOBAL__N_125multi_tensor_apply_kernelINS1_18TensorListMetadataILi3EEENS1_22TernaryOpScalarFunctorIN3c107complexIfEELi3ELi2ELi2EEEJNS0_11LerpFunctorIS8_EES8_EEEvT_T0_DpT1_ ; -- Begin function _ZN2at6native12_GLOBAL__N_125multi_tensor_apply_kernelINS1_18TensorListMetadataILi3EEENS1_22TernaryOpScalarFunctorIN3c107complexIfEELi3ELi2ELi2EEEJNS0_11LerpFunctorIS8_EES8_EEEvT_T0_DpT1_
	.p2align	8
	.type	_ZN2at6native12_GLOBAL__N_125multi_tensor_apply_kernelINS1_18TensorListMetadataILi3EEENS1_22TernaryOpScalarFunctorIN3c107complexIfEELi3ELi2ELi2EEEJNS0_11LerpFunctorIS8_EES8_EEEvT_T0_DpT1_,@function
_ZN2at6native12_GLOBAL__N_125multi_tensor_apply_kernelINS1_18TensorListMetadataILi3EEENS1_22TernaryOpScalarFunctorIN3c107complexIfEELi3ELi2ELi2EEEJNS0_11LerpFunctorIS8_EES8_EEEvT_T0_DpT1_: ; @_ZN2at6native12_GLOBAL__N_125multi_tensor_apply_kernelINS1_18TensorListMetadataILi3EEENS1_22TernaryOpScalarFunctorIN3c107complexIfEELi3ELi2ELi2EEEJNS0_11LerpFunctorIS8_EES8_EEEvT_T0_DpT1_
; %bb.0:
	v_mov_b32_e32 v1, s2
	global_load_ubyte v1, v1, s[0:1] offset:1536
	s_add_u32 s3, s0, s2
	s_mul_hi_u32 s4, s2, 3
	s_mul_i32 s2, s2, 3
	s_addc_u32 s5, s1, 0
	s_add_u32 s2, s3, s2
	s_addc_u32 s3, s5, s4
	s_load_dword s4, s[2:3], 0x740
	s_load_dwordx2 s[12:13], s[0:1], 0xc50
	s_mov_b32 s3, 0
	s_mov_b32 s25, s3
	s_waitcnt lgkmcnt(0)
	s_ashr_i32 s5, s4, 31
	s_lshl_b64 s[14:15], s[4:5], 19
	s_waitcnt vmcnt(0)
	v_readfirstlane_b32 s2, v1
	s_lshl_b32 s2, s2, 3
	s_load_dwordx2 s[6:7], s[0:1], s2 offset:0x0
	s_load_dwordx2 s[8:9], s[0:1], s2 offset:0x180
	;; [unrolled: 1-line block ×4, first 2 shown]
	s_waitcnt lgkmcnt(0)
	s_add_u32 s16, s6, s14
	s_addc_u32 s17, s7, s15
	s_add_u32 s20, s8, s14
	s_addc_u32 s21, s9, s15
	;; [unrolled: 2-line block ×3, first 2 shown]
	s_or_b32 s18, s22, s20
	s_lshl_b64 s[4:5], s[4:5], 16
	s_and_b32 s2, s16, 31
	s_and_b32 s18, s18, 31
	s_cmp_lg_u32 s18, 0
	s_cselect_b64 s[28:29], -1, 0
	s_sub_u32 s18, s26, s4
	s_subb_u32 s19, s27, s5
	s_and_b32 s24, s26, 3
	s_or_b64 s[2:3], s[2:3], s[24:25]
	s_cmp_lg_u64 s[2:3], 0
	s_cselect_b64 s[2:3], -1, 0
	s_or_b64 s[2:3], s[28:29], s[2:3]
	s_andn2_b64 vcc, exec, s[2:3]
	s_mov_b64 s[2:3], -1
	s_cbranch_vccz .LBB15_21
; %bb.1:
	v_mov_b64_e32 v[2:3], 0x10000
	v_cmp_lt_i64_e32 vcc, s[18:19], v[2:3]
	s_and_b64 s[2:3], vcc, exec
	v_mov_b32_e32 v23, 0
	s_cselect_b32 s25, s19, 0
	s_cselect_b32 s24, s18, 0x10000
	v_lshlrev_b32_e32 v22, 2, v0
	v_cmp_gt_i64_e32 vcc, s[24:25], v[22:23]
	s_and_saveexec_b64 s[26:27], vcc
	s_cbranch_execz .LBB15_20
; %bb.2:
	s_load_dword s2, s[0:1], 0xc64
	v_pk_mul_f32 v[2:3], s[12:13], s[12:13]
	s_mov_b32 s3, 0x3e800000
	v_add_f32_e32 v2, v2, v3
	v_mov_b32_e32 v22, 1.0
	s_waitcnt lgkmcnt(0)
	s_and_b32 s28, s2, 0xffff
	v_cmp_ngt_f32_e64 s[2:3], s3, v2
	v_mov_b32_e32 v1, v23
	v_pk_add_f32 v[24:25], s[12:13], v[22:23] neg_lo:[1,0] neg_hi:[1,0]
	v_cndmask_b32_e64 v2, 0, 1, s[2:3]
	s_mov_b32 s29, 0
	v_mov_b32_e32 v26, v25
	v_mov_b32_e32 v27, v24
	s_mov_b32 s30, s13
	s_mov_b32 s31, s12
	v_lshlrev_b32_e32 v22, 5, v0
	s_lshl_b32 s33, s28, 5
	s_mov_b64 s[34:35], 0
	v_cmp_ne_u32_e64 s[4:5], 1, v2
	v_mov_b64_e32 v[28:29], v[0:1]
	s_branch .LBB15_4
.LBB15_3:                               ;   in Loop: Header=BB15_4 Depth=1
	v_lshl_add_u64 v[2:3], s[22:23], 0, v[22:23]
	s_add_u32 s22, s22, s33
	s_addc_u32 s23, s23, 0
	s_add_u32 s16, s16, s33
	v_lshl_add_u64 v[28:29], v[28:29], 0, s[28:29]
	s_addc_u32 s17, s17, 0
	v_lshlrev_b64 v[4:5], 2, v[28:29]
	s_add_u32 s20, s20, s33
	s_addc_u32 s21, s21, 0
	v_cmp_le_i64_e32 vcc, s[24:25], v[4:5]
	s_or_b64 s[34:35], vcc, s[34:35]
	global_store_dwordx4 v[2:3], v[6:9], off
	global_store_dwordx4 v[2:3], v[14:17], off offset:16
	s_andn2_b64 exec, exec, s[34:35]
	s_cbranch_execz .LBB15_20
.LBB15_4:                               ; =>This Inner Loop Header: Depth=1
	v_lshl_add_u64 v[8:9], s[20:21], 0, v[22:23]
	v_lshl_add_u64 v[6:7], s[16:17], 0, v[22:23]
	global_load_dwordx4 v[18:21], v[8:9], off
	global_load_dwordx4 v[14:17], v[6:7], off
	global_load_dwordx4 v[2:5], v[6:7], off offset:16
	global_load_dwordx4 v[10:13], v[8:9], off offset:16
	s_mov_b64 s[36:37], -1
	s_and_b64 vcc, exec, s[2:3]
                                        ; implicit-def: $vgpr6_vgpr7
	s_waitcnt vmcnt(2)
	v_pk_add_f32 v[8:9], v[18:19], v[14:15] neg_lo:[0,1] neg_hi:[0,1]
	s_cbranch_vccz .LBB15_8
; %bb.5:                                ;   in Loop: Header=BB15_4 Depth=1
	v_pk_mul_f32 v[6:7], v[26:27], v[8:9] op_sel:[0,1]
	s_nop 0
	v_pk_fma_f32 v[30:31], v[24:25], v[8:9], v[6:7] neg_lo:[0,0,1] neg_hi:[0,0,1]
	v_pk_fma_f32 v[6:7], v[24:25], v[8:9], v[6:7] op_sel_hi:[1,0,1]
	s_nop 0
	v_mov_b32_e32 v31, v7
	v_pk_add_f32 v[6:7], v[18:19], v[30:31] neg_lo:[0,1] neg_hi:[0,1]
	s_cbranch_execz .LBB15_9
.LBB15_6:                               ;   in Loop: Header=BB15_4 Depth=1
	v_pk_add_f32 v[14:15], v[20:21], v[16:17] neg_lo:[0,1] neg_hi:[0,1]
	s_and_b64 vcc, exec, s[4:5]
	s_mov_b64 s[36:37], -1
	s_cbranch_vccnz .LBB15_10
.LBB15_7:                               ;   in Loop: Header=BB15_4 Depth=1
	v_pk_mul_f32 v[8:9], v[26:27], v[14:15] op_sel:[0,1]
	s_nop 0
	v_pk_fma_f32 v[18:19], v[24:25], v[14:15], v[8:9] neg_lo:[0,0,1] neg_hi:[0,0,1]
	v_pk_fma_f32 v[8:9], v[24:25], v[14:15], v[8:9] op_sel_hi:[1,0,1]
	s_nop 0
	v_mov_b32_e32 v19, v9
	v_pk_add_f32 v[8:9], v[20:21], v[18:19] neg_lo:[0,1] neg_hi:[0,1]
	s_cbranch_execnz .LBB15_12
	s_branch .LBB15_11
.LBB15_8:                               ;   in Loop: Header=BB15_4 Depth=1
	s_andn2_b64 vcc, exec, s[36:37]
	s_cbranch_vccnz .LBB15_6
.LBB15_9:                               ;   in Loop: Header=BB15_4 Depth=1
	v_pk_mul_f32 v[6:7], v[8:9], s[30:31] op_sel:[1,0]
	s_nop 0
	v_pk_fma_f32 v[18:19], v[8:9], s[12:13], v[6:7] neg_lo:[0,0,1] neg_hi:[0,0,1]
	v_pk_fma_f32 v[6:7], v[8:9], s[12:13], v[6:7] op_sel_hi:[0,1,1]
	v_mov_b32_e32 v19, v7
	v_pk_add_f32 v[6:7], v[14:15], v[18:19]
	v_pk_add_f32 v[14:15], v[20:21], v[16:17] neg_lo:[0,1] neg_hi:[0,1]
	s_and_b64 vcc, exec, s[4:5]
	s_mov_b64 s[36:37], -1
	s_cbranch_vccz .LBB15_7
.LBB15_10:                              ;   in Loop: Header=BB15_4 Depth=1
	s_andn2_b64 vcc, exec, s[36:37]
	s_cbranch_vccnz .LBB15_12
.LBB15_11:                              ;   in Loop: Header=BB15_4 Depth=1
	v_pk_mul_f32 v[8:9], v[14:15], s[30:31] op_sel:[1,0]
	s_nop 0
	v_pk_fma_f32 v[18:19], v[14:15], s[12:13], v[8:9] neg_lo:[0,0,1] neg_hi:[0,0,1]
	v_pk_fma_f32 v[8:9], v[14:15], s[12:13], v[8:9] op_sel_hi:[0,1,1]
	v_mov_b32_e32 v19, v9
	v_pk_add_f32 v[8:9], v[16:17], v[18:19]
.LBB15_12:                              ;   in Loop: Header=BB15_4 Depth=1
	s_waitcnt vmcnt(0)
	v_pk_add_f32 v[16:17], v[10:11], v[2:3] neg_lo:[0,1] neg_hi:[0,1]
	s_and_b64 vcc, exec, s[4:5]
	s_mov_b64 s[36:37], -1
                                        ; implicit-def: $vgpr14_vgpr15
	s_cbranch_vccnz .LBB15_16
; %bb.13:                               ;   in Loop: Header=BB15_4 Depth=1
	v_pk_mul_f32 v[14:15], v[26:27], v[16:17] op_sel:[0,1]
	s_nop 0
	v_pk_fma_f32 v[18:19], v[24:25], v[16:17], v[14:15] neg_lo:[0,0,1] neg_hi:[0,0,1]
	v_pk_fma_f32 v[14:15], v[24:25], v[16:17], v[14:15] op_sel_hi:[1,0,1]
	s_nop 0
	v_mov_b32_e32 v19, v15
	v_pk_add_f32 v[14:15], v[10:11], v[18:19] neg_lo:[0,1] neg_hi:[0,1]
	s_cbranch_execz .LBB15_17
.LBB15_14:                              ;   in Loop: Header=BB15_4 Depth=1
	v_pk_add_f32 v[2:3], v[12:13], v[4:5] neg_lo:[0,1] neg_hi:[0,1]
	s_and_b64 vcc, exec, s[4:5]
	s_mov_b64 s[36:37], -1
	s_cbranch_vccnz .LBB15_18
.LBB15_15:                              ;   in Loop: Header=BB15_4 Depth=1
	v_pk_mul_f32 v[10:11], v[26:27], v[2:3] op_sel:[0,1]
	s_nop 0
	v_pk_fma_f32 v[16:17], v[24:25], v[2:3], v[10:11] neg_lo:[0,0,1] neg_hi:[0,0,1]
	v_pk_fma_f32 v[10:11], v[24:25], v[2:3], v[10:11] op_sel_hi:[1,0,1]
	s_nop 0
	v_mov_b32_e32 v17, v11
	v_pk_add_f32 v[16:17], v[12:13], v[16:17] neg_lo:[0,1] neg_hi:[0,1]
	s_cbranch_execnz .LBB15_3
	s_branch .LBB15_19
.LBB15_16:                              ;   in Loop: Header=BB15_4 Depth=1
	s_andn2_b64 vcc, exec, s[36:37]
	s_cbranch_vccnz .LBB15_14
.LBB15_17:                              ;   in Loop: Header=BB15_4 Depth=1
	v_pk_mul_f32 v[10:11], v[16:17], s[30:31] op_sel:[1,0]
	s_nop 0
	v_pk_fma_f32 v[14:15], v[16:17], s[12:13], v[10:11] neg_lo:[0,0,1] neg_hi:[0,0,1]
	v_pk_fma_f32 v[10:11], v[16:17], s[12:13], v[10:11] op_sel_hi:[0,1,1]
	v_mov_b32_e32 v15, v11
	v_pk_add_f32 v[14:15], v[2:3], v[14:15]
	v_pk_add_f32 v[2:3], v[12:13], v[4:5] neg_lo:[0,1] neg_hi:[0,1]
	s_and_b64 vcc, exec, s[4:5]
	s_mov_b64 s[36:37], -1
	s_cbranch_vccz .LBB15_15
.LBB15_18:                              ;   in Loop: Header=BB15_4 Depth=1
	s_andn2_b64 vcc, exec, s[36:37]
	s_cbranch_vccnz .LBB15_3
.LBB15_19:                              ;   in Loop: Header=BB15_4 Depth=1
	v_pk_mul_f32 v[10:11], v[2:3], s[30:31] op_sel:[1,0]
	s_nop 0
	v_pk_fma_f32 v[12:13], v[2:3], s[12:13], v[10:11] neg_lo:[0,0,1] neg_hi:[0,0,1]
	v_pk_fma_f32 v[2:3], v[2:3], s[12:13], v[10:11] op_sel_hi:[0,1,1]
	v_mov_b32_e32 v13, v3
	v_pk_add_f32 v[16:17], v[4:5], v[12:13]
	s_branch .LBB15_3
.LBB15_20:
	s_or_b64 exec, exec, s[26:27]
	s_mov_b64 s[2:3], 0
.LBB15_21:
	s_andn2_b64 vcc, exec, s[2:3]
	s_cbranch_vccnz .LBB15_57
; %bb.22:
	v_cmp_lt_i64_e64 s[2:3], s[18:19], 1
	s_and_b64 vcc, exec, s[2:3]
	s_cbranch_vccnz .LBB15_57
; %bb.23:
	s_load_dword s2, s[0:1], 0xc64
	v_mov_b64_e32 v[2:3], 0x10000
	v_cmp_lt_i64_e32 vcc, s[18:19], v[2:3]
	s_and_b64 s[0:1], vcc, exec
	s_mov_b32 s3, 0
	s_cselect_b32 s17, s19, 0
	s_cselect_b32 s16, s18, 0x10000
	s_waitcnt lgkmcnt(0)
	s_and_b32 s2, s2, 0xffff
	v_cmp_lt_u64_e32 vcc, s[18:19], v[2:3]
	v_mov_b32_e32 v1, 0
	s_and_b64 s[0:1], vcc, exec
	s_mul_i32 s24, s2, 3
	s_mov_b32 s25, s3
	v_pk_mul_f32 v[2:3], s[12:13], s[12:13]
	s_cselect_b32 s19, s19, 0
	s_cselect_b32 s18, s18, 0x10000
	v_add_f32_e32 v2, v2, v3
	s_mov_b32 s0, 0x3e800000
	v_lshlrev_b32_e32 v20, 3, v0
	v_mov_b32_e32 v21, v1
	v_lshl_add_u64 v[18:19], s[24:25], 0, v[0:1]
	s_lshl_b32 s24, s2, 4
	v_lshl_add_u64 v[28:29], v[0:1], 0, s[2:3]
	s_lshl_b32 s4, s2, 1
	s_mov_b32 s5, s3
	v_cmp_ngt_f32_e64 s[0:1], s0, v2
	v_sub_f32_e64 v2, 1.0, s12
	v_sub_f32_e64 v4, 0, s13
	v_mad_u64_u32 v[16:17], s[26:27], s2, 24, v[20:21]
	v_lshl_add_u64 v[24:25], s[24:25], 0, v[20:21]
	v_lshlrev_b32_e32 v34, 3, v28
	v_mov_b32_e32 v35, v1
	s_lshl_b32 s28, s2, 2
	s_mov_b32 s20, s12
	s_mov_b32 s21, s12
	;; [unrolled: 1-line block ×3, first 2 shown]
	v_mov_b32_e32 v3, v2
	v_mov_b32_e32 v5, v4
	v_lshl_add_u64 v[6:7], s[8:9], 0, v[20:21]
	s_lshl_b32 s22, s2, 5
	s_mov_b32 s23, s3
	v_lshl_add_u64 v[8:9], s[6:7], 0, v[20:21]
	v_lshl_add_u64 v[10:11], s[10:11], 0, v[20:21]
	;; [unrolled: 1-line block ×12, first 2 shown]
	s_mov_b64 s[24:25], 0
	s_branch .LBB15_25
.LBB15_24:                              ;   in Loop: Header=BB15_25 Depth=1
	s_or_b64 exec, exec, s[2:3]
	s_add_u32 s24, s24, s28
	s_addc_u32 s25, s25, 0
	v_mov_b64_e32 v[36:37], s[16:17]
	v_cmp_ge_i64_e32 vcc, s[24:25], v[36:37]
	v_lshl_add_u64 v[6:7], v[6:7], 0, s[22:23]
	v_lshl_add_u64 v[8:9], v[8:9], 0, s[22:23]
	v_lshl_add_u64 v[10:11], v[10:11], 0, s[22:23]
	v_lshl_add_u64 v[12:13], v[12:13], 0, s[22:23]
	v_lshl_add_u64 v[14:15], v[14:15], 0, s[22:23]
	v_lshl_add_u64 v[16:17], v[16:17], 0, s[22:23]
	v_lshl_add_u64 v[20:21], v[20:21], 0, s[22:23]
	v_lshl_add_u64 v[22:23], v[22:23], 0, s[22:23]
	v_lshl_add_u64 v[24:25], v[24:25], 0, s[22:23]
	v_lshl_add_u64 v[30:31], v[30:31], 0, s[22:23]
	v_lshl_add_u64 v[32:33], v[32:33], 0, s[22:23]
	v_lshl_add_u64 v[34:35], v[34:35], 0, s[22:23]
	s_cbranch_vccnz .LBB15_57
.LBB15_25:                              ; =>This Inner Loop Header: Depth=1
	v_lshl_add_u64 v[36:37], v[0:1], 0, s[24:25]
	v_cmp_gt_u64_e64 s[2:3], s[18:19], v[36:37]
	v_mov_b32_e32 v44, 0
	v_mov_b32_e32 v45, 0
	;; [unrolled: 1-line block ×4, first 2 shown]
	s_and_saveexec_b64 s[4:5], s[2:3]
	s_cbranch_execz .LBB15_27
; %bb.26:                               ;   in Loop: Header=BB15_25 Depth=1
	v_lshl_add_u64 v[38:39], v[8:9], 0, s[14:15]
	v_lshl_add_u64 v[36:37], v[6:7], 0, s[14:15]
	global_load_dwordx2 v[44:45], v[38:39], off
	global_load_dwordx2 v[52:53], v[36:37], off
.LBB15_27:                              ;   in Loop: Header=BB15_25 Depth=1
	s_or_b64 exec, exec, s[4:5]
	v_lshl_add_u64 v[36:37], v[28:29], 0, s[24:25]
	v_cmp_gt_u64_e64 s[4:5], s[18:19], v[36:37]
	v_mov_b32_e32 v36, 0
	v_mov_b32_e32 v40, 0
	;; [unrolled: 1-line block ×5, first 2 shown]
	s_and_saveexec_b64 s[6:7], s[4:5]
	s_cbranch_execz .LBB15_29
; %bb.28:                               ;   in Loop: Header=BB15_25 Depth=1
	v_lshl_add_u64 v[42:43], v[32:33], 0, s[14:15]
	v_lshl_add_u64 v[38:39], v[30:31], 0, s[14:15]
	global_load_dwordx2 v[40:41], v[42:43], off
	global_load_dwordx2 v[50:51], v[38:39], off
.LBB15_29:                              ;   in Loop: Header=BB15_25 Depth=1
	s_or_b64 exec, exec, s[6:7]
	v_lshl_add_u64 v[38:39], v[26:27], 0, s[24:25]
	v_cmp_gt_u64_e64 s[6:7], s[18:19], v[38:39]
	v_mov_b32_e32 v37, 0
	v_mov_b32_e32 v46, 0
	;; [unrolled: 1-line block ×3, first 2 shown]
	s_and_saveexec_b64 s[8:9], s[6:7]
	s_cbranch_execz .LBB15_31
; %bb.30:                               ;   in Loop: Header=BB15_25 Depth=1
	v_lshl_add_u64 v[42:43], v[22:23], 0, s[14:15]
	v_lshl_add_u64 v[38:39], v[20:21], 0, s[14:15]
	global_load_dwordx2 v[36:37], v[42:43], off
	global_load_dwordx2 v[46:47], v[38:39], off
.LBB15_31:                              ;   in Loop: Header=BB15_25 Depth=1
	s_or_b64 exec, exec, s[8:9]
	v_lshl_add_u64 v[38:39], v[18:19], 0, s[24:25]
	v_cmp_gt_u64_e64 s[8:9], s[18:19], v[38:39]
	v_mov_b32_e32 v38, 0
	v_mov_b32_e32 v39, v38
	;; [unrolled: 1-line block ×4, first 2 shown]
	s_and_saveexec_b64 s[10:11], s[8:9]
	s_cbranch_execz .LBB15_33
; %bb.32:                               ;   in Loop: Header=BB15_25 Depth=1
	v_lshl_add_u64 v[54:55], v[14:15], 0, s[14:15]
	v_lshl_add_u64 v[48:49], v[12:13], 0, s[14:15]
	global_load_dwordx2 v[38:39], v[54:55], off
	global_load_dwordx2 v[42:43], v[48:49], off
.LBB15_33:                              ;   in Loop: Header=BB15_25 Depth=1
	s_or_b64 exec, exec, s[10:11]
	s_waitcnt vmcnt(0)
	v_pk_add_f32 v[54:55], v[52:53], v[44:45] neg_lo:[0,1] neg_hi:[0,1]
	s_mov_b64 s[10:11], -1
	s_and_b64 vcc, exec, s[0:1]
                                        ; implicit-def: $vgpr48_vgpr49
	s_cbranch_vccz .LBB15_35
; %bb.34:                               ;   in Loop: Header=BB15_25 Depth=1
	v_pk_mul_f32 v[48:49], v[4:5], v[54:55] op_sel:[0,1] op_sel_hi:[1,0]
	s_mov_b64 s[10:11], 0
	v_pk_fma_f32 v[56:57], v[2:3], v[54:55], v[48:49] neg_lo:[0,0,1] neg_hi:[0,0,1]
	v_pk_fma_f32 v[48:49], v[2:3], v[54:55], v[48:49]
	s_nop 0
	v_mov_b32_e32 v57, v49
	v_pk_add_f32 v[48:49], v[52:53], v[56:57] neg_lo:[0,1] neg_hi:[0,1]
.LBB15_35:                              ;   in Loop: Header=BB15_25 Depth=1
	s_andn2_b64 vcc, exec, s[10:11]
	s_cbranch_vccnz .LBB15_37
; %bb.36:                               ;   in Loop: Header=BB15_25 Depth=1
	v_pk_mul_f32 v[48:49], v[54:55], s[12:13] op_sel:[1,0] op_sel_hi:[0,1]
	v_pk_fma_f32 v[52:53], v[54:55], s[20:21], v[48:49] neg_lo:[0,0,1] neg_hi:[0,0,1]
	v_pk_fma_f32 v[48:49], v[54:55], s[20:21], v[48:49]
	s_nop 0
	v_mov_b32_e32 v53, v49
	v_pk_add_f32 v[48:49], v[44:45], v[52:53]
.LBB15_37:                              ;   in Loop: Header=BB15_25 Depth=1
	v_cndmask_b32_e64 v44, 0, 1, s[0:1]
	v_pk_add_f32 v[52:53], v[50:51], v[40:41] neg_lo:[0,1] neg_hi:[0,1]
	v_cmp_ne_u32_e64 s[10:11], 1, v44
	s_andn2_b64 vcc, exec, s[0:1]
	s_mov_b64 s[26:27], -1
                                        ; implicit-def: $vgpr44_vgpr45
	s_cbranch_vccnz .LBB15_39
; %bb.38:                               ;   in Loop: Header=BB15_25 Depth=1
	v_pk_mul_f32 v[44:45], v[4:5], v[52:53] op_sel:[0,1] op_sel_hi:[1,0]
	s_nop 0
	v_pk_fma_f32 v[54:55], v[2:3], v[52:53], v[44:45] neg_lo:[0,0,1] neg_hi:[0,0,1]
	v_pk_fma_f32 v[44:45], v[2:3], v[52:53], v[44:45]
	s_nop 0
	v_mov_b32_e32 v55, v45
	v_pk_add_f32 v[44:45], v[50:51], v[54:55] neg_lo:[0,1] neg_hi:[0,1]
	s_cbranch_execnz .LBB15_41
	s_branch .LBB15_40
.LBB15_39:                              ;   in Loop: Header=BB15_25 Depth=1
	s_andn2_b64 vcc, exec, s[26:27]
	s_cbranch_vccnz .LBB15_41
.LBB15_40:                              ;   in Loop: Header=BB15_25 Depth=1
	v_pk_mul_f32 v[44:45], v[52:53], s[12:13] op_sel:[1,0] op_sel_hi:[0,1]
	v_pk_fma_f32 v[50:51], v[52:53], s[20:21], v[44:45] neg_lo:[0,0,1] neg_hi:[0,0,1]
	v_pk_fma_f32 v[44:45], v[52:53], s[20:21], v[44:45]
	s_nop 0
	v_mov_b32_e32 v51, v45
	v_pk_add_f32 v[44:45], v[40:41], v[50:51]
.LBB15_41:                              ;   in Loop: Header=BB15_25 Depth=1
	v_pk_add_f32 v[50:51], v[46:47], v[36:37] neg_lo:[0,1] neg_hi:[0,1]
	s_and_b64 vcc, exec, s[10:11]
	s_mov_b64 s[26:27], -1
                                        ; implicit-def: $vgpr40_vgpr41
	s_cbranch_vccnz .LBB15_43
; %bb.42:                               ;   in Loop: Header=BB15_25 Depth=1
	v_pk_mul_f32 v[40:41], v[4:5], v[50:51] op_sel:[0,1] op_sel_hi:[1,0]
	s_nop 0
	v_pk_fma_f32 v[52:53], v[2:3], v[50:51], v[40:41] neg_lo:[0,0,1] neg_hi:[0,0,1]
	v_pk_fma_f32 v[40:41], v[2:3], v[50:51], v[40:41]
	s_nop 0
	v_mov_b32_e32 v53, v41
	v_pk_add_f32 v[40:41], v[46:47], v[52:53] neg_lo:[0,1] neg_hi:[0,1]
	s_cbranch_execnz .LBB15_45
	s_branch .LBB15_44
.LBB15_43:                              ;   in Loop: Header=BB15_25 Depth=1
	s_andn2_b64 vcc, exec, s[26:27]
	s_cbranch_vccnz .LBB15_45
.LBB15_44:                              ;   in Loop: Header=BB15_25 Depth=1
	v_pk_mul_f32 v[40:41], v[50:51], s[12:13] op_sel:[1,0] op_sel_hi:[0,1]
	v_pk_fma_f32 v[46:47], v[50:51], s[20:21], v[40:41] neg_lo:[0,0,1] neg_hi:[0,0,1]
	v_pk_fma_f32 v[40:41], v[50:51], s[20:21], v[40:41]
	s_nop 0
	v_mov_b32_e32 v47, v41
	v_pk_add_f32 v[40:41], v[36:37], v[46:47]
.LBB15_45:                              ;   in Loop: Header=BB15_25 Depth=1
	v_pk_add_f32 v[46:47], v[42:43], v[38:39] neg_lo:[0,1] neg_hi:[0,1]
	s_and_b64 vcc, exec, s[10:11]
	s_mov_b64 s[10:11], -1
                                        ; implicit-def: $vgpr36_vgpr37
	s_cbranch_vccnz .LBB15_51
; %bb.46:                               ;   in Loop: Header=BB15_25 Depth=1
	v_pk_mul_f32 v[36:37], v[4:5], v[46:47] op_sel:[0,1] op_sel_hi:[1,0]
	s_nop 0
	v_pk_fma_f32 v[50:51], v[2:3], v[46:47], v[36:37] neg_lo:[0,0,1] neg_hi:[0,0,1]
	v_pk_fma_f32 v[36:37], v[2:3], v[46:47], v[36:37]
	s_nop 0
	v_mov_b32_e32 v51, v37
	v_pk_add_f32 v[36:37], v[42:43], v[50:51] neg_lo:[0,1] neg_hi:[0,1]
	s_cbranch_execz .LBB15_52
.LBB15_47:                              ;   in Loop: Header=BB15_25 Depth=1
	s_and_saveexec_b64 s[10:11], s[2:3]
	s_xor_b64 s[2:3], exec, s[10:11]
	s_cbranch_execz .LBB15_53
.LBB15_48:                              ;   in Loop: Header=BB15_25 Depth=1
	v_lshl_add_u64 v[38:39], v[10:11], 0, s[14:15]
	global_store_dwordx2 v[38:39], v[48:49], off
	s_or_b64 exec, exec, s[2:3]
	s_and_saveexec_b64 s[2:3], s[4:5]
	s_cbranch_execnz .LBB15_54
.LBB15_49:                              ;   in Loop: Header=BB15_25 Depth=1
	s_or_b64 exec, exec, s[2:3]
	s_and_saveexec_b64 s[2:3], s[6:7]
	s_cbranch_execz .LBB15_55
.LBB15_50:                              ;   in Loop: Header=BB15_25 Depth=1
	v_lshl_add_u64 v[38:39], v[24:25], 0, s[14:15]
	global_store_dwordx2 v[38:39], v[40:41], off
	s_or_b64 exec, exec, s[2:3]
	s_and_saveexec_b64 s[2:3], s[8:9]
	s_cbranch_execz .LBB15_24
	s_branch .LBB15_56
.LBB15_51:                              ;   in Loop: Header=BB15_25 Depth=1
	s_andn2_b64 vcc, exec, s[10:11]
	s_cbranch_vccnz .LBB15_47
.LBB15_52:                              ;   in Loop: Header=BB15_25 Depth=1
	v_pk_mul_f32 v[36:37], v[46:47], s[12:13] op_sel:[1,0] op_sel_hi:[0,1]
	v_pk_fma_f32 v[42:43], v[46:47], s[20:21], v[36:37] neg_lo:[0,0,1] neg_hi:[0,0,1]
	v_pk_fma_f32 v[36:37], v[46:47], s[20:21], v[36:37]
	s_nop 0
	v_mov_b32_e32 v43, v37
	v_pk_add_f32 v[36:37], v[38:39], v[42:43]
	s_and_saveexec_b64 s[10:11], s[2:3]
	s_xor_b64 s[2:3], exec, s[10:11]
	s_cbranch_execnz .LBB15_48
.LBB15_53:                              ;   in Loop: Header=BB15_25 Depth=1
	s_or_b64 exec, exec, s[2:3]
	s_and_saveexec_b64 s[2:3], s[4:5]
	s_cbranch_execz .LBB15_49
.LBB15_54:                              ;   in Loop: Header=BB15_25 Depth=1
	v_lshl_add_u64 v[38:39], v[34:35], 0, s[14:15]
	global_store_dwordx2 v[38:39], v[44:45], off
	s_or_b64 exec, exec, s[2:3]
	s_and_saveexec_b64 s[2:3], s[6:7]
	s_cbranch_execnz .LBB15_50
.LBB15_55:                              ;   in Loop: Header=BB15_25 Depth=1
	s_or_b64 exec, exec, s[2:3]
	s_and_saveexec_b64 s[2:3], s[8:9]
	s_cbranch_execz .LBB15_24
.LBB15_56:                              ;   in Loop: Header=BB15_25 Depth=1
	v_lshl_add_u64 v[38:39], v[16:17], 0, s[14:15]
	global_store_dwordx2 v[38:39], v[36:37], off
	s_branch .LBB15_24
.LBB15_57:
	s_endpgm
	.section	.rodata,"a",@progbits
	.p2align	6, 0x0
	.amdhsa_kernel _ZN2at6native12_GLOBAL__N_125multi_tensor_apply_kernelINS1_18TensorListMetadataILi3EEENS1_22TernaryOpScalarFunctorIN3c107complexIfEELi3ELi2ELi2EEEJNS0_11LerpFunctorIS8_EES8_EEEvT_T0_DpT1_
		.amdhsa_group_segment_fixed_size 0
		.amdhsa_private_segment_fixed_size 0
		.amdhsa_kernarg_size 3416
		.amdhsa_user_sgpr_count 2
		.amdhsa_user_sgpr_dispatch_ptr 0
		.amdhsa_user_sgpr_queue_ptr 0
		.amdhsa_user_sgpr_kernarg_segment_ptr 1
		.amdhsa_user_sgpr_dispatch_id 0
		.amdhsa_user_sgpr_kernarg_preload_length 0
		.amdhsa_user_sgpr_kernarg_preload_offset 0
		.amdhsa_user_sgpr_private_segment_size 0
		.amdhsa_uses_dynamic_stack 0
		.amdhsa_enable_private_segment 0
		.amdhsa_system_sgpr_workgroup_id_x 1
		.amdhsa_system_sgpr_workgroup_id_y 0
		.amdhsa_system_sgpr_workgroup_id_z 0
		.amdhsa_system_sgpr_workgroup_info 0
		.amdhsa_system_vgpr_workitem_id 0
		.amdhsa_next_free_vgpr 58
		.amdhsa_next_free_sgpr 38
		.amdhsa_accum_offset 60
		.amdhsa_reserve_vcc 1
		.amdhsa_float_round_mode_32 0
		.amdhsa_float_round_mode_16_64 0
		.amdhsa_float_denorm_mode_32 3
		.amdhsa_float_denorm_mode_16_64 3
		.amdhsa_dx10_clamp 1
		.amdhsa_ieee_mode 1
		.amdhsa_fp16_overflow 0
		.amdhsa_tg_split 0
		.amdhsa_exception_fp_ieee_invalid_op 0
		.amdhsa_exception_fp_denorm_src 0
		.amdhsa_exception_fp_ieee_div_zero 0
		.amdhsa_exception_fp_ieee_overflow 0
		.amdhsa_exception_fp_ieee_underflow 0
		.amdhsa_exception_fp_ieee_inexact 0
		.amdhsa_exception_int_div_zero 0
	.end_amdhsa_kernel
	.section	.text._ZN2at6native12_GLOBAL__N_125multi_tensor_apply_kernelINS1_18TensorListMetadataILi3EEENS1_22TernaryOpScalarFunctorIN3c107complexIfEELi3ELi2ELi2EEEJNS0_11LerpFunctorIS8_EES8_EEEvT_T0_DpT1_,"axG",@progbits,_ZN2at6native12_GLOBAL__N_125multi_tensor_apply_kernelINS1_18TensorListMetadataILi3EEENS1_22TernaryOpScalarFunctorIN3c107complexIfEELi3ELi2ELi2EEEJNS0_11LerpFunctorIS8_EES8_EEEvT_T0_DpT1_,comdat
.Lfunc_end15:
	.size	_ZN2at6native12_GLOBAL__N_125multi_tensor_apply_kernelINS1_18TensorListMetadataILi3EEENS1_22TernaryOpScalarFunctorIN3c107complexIfEELi3ELi2ELi2EEEJNS0_11LerpFunctorIS8_EES8_EEEvT_T0_DpT1_, .Lfunc_end15-_ZN2at6native12_GLOBAL__N_125multi_tensor_apply_kernelINS1_18TensorListMetadataILi3EEENS1_22TernaryOpScalarFunctorIN3c107complexIfEELi3ELi2ELi2EEEJNS0_11LerpFunctorIS8_EES8_EEEvT_T0_DpT1_
                                        ; -- End function
	.set _ZN2at6native12_GLOBAL__N_125multi_tensor_apply_kernelINS1_18TensorListMetadataILi3EEENS1_22TernaryOpScalarFunctorIN3c107complexIfEELi3ELi2ELi2EEEJNS0_11LerpFunctorIS8_EES8_EEEvT_T0_DpT1_.num_vgpr, 58
	.set _ZN2at6native12_GLOBAL__N_125multi_tensor_apply_kernelINS1_18TensorListMetadataILi3EEENS1_22TernaryOpScalarFunctorIN3c107complexIfEELi3ELi2ELi2EEEJNS0_11LerpFunctorIS8_EES8_EEEvT_T0_DpT1_.num_agpr, 0
	.set _ZN2at6native12_GLOBAL__N_125multi_tensor_apply_kernelINS1_18TensorListMetadataILi3EEENS1_22TernaryOpScalarFunctorIN3c107complexIfEELi3ELi2ELi2EEEJNS0_11LerpFunctorIS8_EES8_EEEvT_T0_DpT1_.numbered_sgpr, 38
	.set _ZN2at6native12_GLOBAL__N_125multi_tensor_apply_kernelINS1_18TensorListMetadataILi3EEENS1_22TernaryOpScalarFunctorIN3c107complexIfEELi3ELi2ELi2EEEJNS0_11LerpFunctorIS8_EES8_EEEvT_T0_DpT1_.num_named_barrier, 0
	.set _ZN2at6native12_GLOBAL__N_125multi_tensor_apply_kernelINS1_18TensorListMetadataILi3EEENS1_22TernaryOpScalarFunctorIN3c107complexIfEELi3ELi2ELi2EEEJNS0_11LerpFunctorIS8_EES8_EEEvT_T0_DpT1_.private_seg_size, 0
	.set _ZN2at6native12_GLOBAL__N_125multi_tensor_apply_kernelINS1_18TensorListMetadataILi3EEENS1_22TernaryOpScalarFunctorIN3c107complexIfEELi3ELi2ELi2EEEJNS0_11LerpFunctorIS8_EES8_EEEvT_T0_DpT1_.uses_vcc, 1
	.set _ZN2at6native12_GLOBAL__N_125multi_tensor_apply_kernelINS1_18TensorListMetadataILi3EEENS1_22TernaryOpScalarFunctorIN3c107complexIfEELi3ELi2ELi2EEEJNS0_11LerpFunctorIS8_EES8_EEEvT_T0_DpT1_.uses_flat_scratch, 0
	.set _ZN2at6native12_GLOBAL__N_125multi_tensor_apply_kernelINS1_18TensorListMetadataILi3EEENS1_22TernaryOpScalarFunctorIN3c107complexIfEELi3ELi2ELi2EEEJNS0_11LerpFunctorIS8_EES8_EEEvT_T0_DpT1_.has_dyn_sized_stack, 0
	.set _ZN2at6native12_GLOBAL__N_125multi_tensor_apply_kernelINS1_18TensorListMetadataILi3EEENS1_22TernaryOpScalarFunctorIN3c107complexIfEELi3ELi2ELi2EEEJNS0_11LerpFunctorIS8_EES8_EEEvT_T0_DpT1_.has_recursion, 0
	.set _ZN2at6native12_GLOBAL__N_125multi_tensor_apply_kernelINS1_18TensorListMetadataILi3EEENS1_22TernaryOpScalarFunctorIN3c107complexIfEELi3ELi2ELi2EEEJNS0_11LerpFunctorIS8_EES8_EEEvT_T0_DpT1_.has_indirect_call, 0
	.section	.AMDGPU.csdata,"",@progbits
; Kernel info:
; codeLenInByte = 2476
; TotalNumSgprs: 44
; NumVgprs: 58
; NumAgprs: 0
; TotalNumVgprs: 58
; ScratchSize: 0
; MemoryBound: 1
; FloatMode: 240
; IeeeMode: 1
; LDSByteSize: 0 bytes/workgroup (compile time only)
; SGPRBlocks: 5
; VGPRBlocks: 7
; NumSGPRsForWavesPerEU: 44
; NumVGPRsForWavesPerEU: 58
; AccumOffset: 60
; Occupancy: 8
; WaveLimiterHint : 0
; COMPUTE_PGM_RSRC2:SCRATCH_EN: 0
; COMPUTE_PGM_RSRC2:USER_SGPR: 2
; COMPUTE_PGM_RSRC2:TRAP_HANDLER: 0
; COMPUTE_PGM_RSRC2:TGID_X_EN: 1
; COMPUTE_PGM_RSRC2:TGID_Y_EN: 0
; COMPUTE_PGM_RSRC2:TGID_Z_EN: 0
; COMPUTE_PGM_RSRC2:TIDIG_COMP_CNT: 0
; COMPUTE_PGM_RSRC3_GFX90A:ACCUM_OFFSET: 14
; COMPUTE_PGM_RSRC3_GFX90A:TG_SPLIT: 0
	.section	.text._ZN2at6native12_GLOBAL__N_125multi_tensor_apply_kernelINS1_18TensorListMetadataILi3EEENS1_22TernaryOpScalarFunctorIN3c104HalfELi3ELi2ELi2EEEJNS0_11LerpFunctorIfEEfEEEvT_T0_DpT1_,"axG",@progbits,_ZN2at6native12_GLOBAL__N_125multi_tensor_apply_kernelINS1_18TensorListMetadataILi3EEENS1_22TernaryOpScalarFunctorIN3c104HalfELi3ELi2ELi2EEEJNS0_11LerpFunctorIfEEfEEEvT_T0_DpT1_,comdat
	.globl	_ZN2at6native12_GLOBAL__N_125multi_tensor_apply_kernelINS1_18TensorListMetadataILi3EEENS1_22TernaryOpScalarFunctorIN3c104HalfELi3ELi2ELi2EEEJNS0_11LerpFunctorIfEEfEEEvT_T0_DpT1_ ; -- Begin function _ZN2at6native12_GLOBAL__N_125multi_tensor_apply_kernelINS1_18TensorListMetadataILi3EEENS1_22TernaryOpScalarFunctorIN3c104HalfELi3ELi2ELi2EEEJNS0_11LerpFunctorIfEEfEEEvT_T0_DpT1_
	.p2align	8
	.type	_ZN2at6native12_GLOBAL__N_125multi_tensor_apply_kernelINS1_18TensorListMetadataILi3EEENS1_22TernaryOpScalarFunctorIN3c104HalfELi3ELi2ELi2EEEJNS0_11LerpFunctorIfEEfEEEvT_T0_DpT1_,@function
_ZN2at6native12_GLOBAL__N_125multi_tensor_apply_kernelINS1_18TensorListMetadataILi3EEENS1_22TernaryOpScalarFunctorIN3c104HalfELi3ELi2ELi2EEEJNS0_11LerpFunctorIfEEfEEEvT_T0_DpT1_: ; @_ZN2at6native12_GLOBAL__N_125multi_tensor_apply_kernelINS1_18TensorListMetadataILi3EEENS1_22TernaryOpScalarFunctorIN3c104HalfELi3ELi2ELi2EEEJNS0_11LerpFunctorIfEEfEEEvT_T0_DpT1_
; %bb.0:
	v_mov_b32_e32 v1, s2
	global_load_ubyte v1, v1, s[0:1] offset:1536
	s_add_u32 s4, s0, s2
	s_mul_hi_u32 s5, s2, 3
	s_mul_i32 s2, s2, 3
	s_addc_u32 s6, s1, 0
	s_add_u32 s4, s4, s2
	s_addc_u32 s5, s6, s5
	s_load_dword s8, s[0:1], 0xc4c
	s_load_dword s14, s[4:5], 0x740
	s_mov_b32 s3, 0
	s_mov_b32 s13, s3
	s_waitcnt lgkmcnt(0)
	s_ashr_i32 s15, s14, 31
	s_lshl_b64 s[10:11], s[14:15], 17
	s_waitcnt vmcnt(0)
	v_readfirstlane_b32 s2, v1
	s_lshl_b32 s2, s2, 3
	s_load_dwordx2 s[16:17], s[0:1], s2 offset:0x480
	s_load_dwordx2 s[4:5], s[0:1], s2 offset:0x0
	;; [unrolled: 1-line block ×4, first 2 shown]
	s_waitcnt lgkmcnt(0)
	s_and_b32 s2, s4, 7
	s_add_u32 s9, s6, s10
	s_or_b32 s9, s20, s9
	s_and_b32 s9, s9, 7
	s_cmp_lg_u32 s9, 0
	s_cselect_b64 s[18:19], -1, 0
	s_lshl_b64 s[14:15], s[14:15], 16
	s_sub_u32 s14, s16, s14
	s_subb_u32 s15, s17, s15
	s_and_b32 s12, s16, 3
	s_or_b64 s[2:3], s[2:3], s[12:13]
	s_cmp_lg_u64 s[2:3], 0
	s_cselect_b64 s[2:3], -1, 0
	s_or_b64 s[2:3], s[18:19], s[2:3]
	s_andn2_b64 vcc, exec, s[2:3]
	s_mov_b64 s[2:3], -1
	s_cbranch_vccz .LBB16_5
; %bb.1:
	v_mov_b64_e32 v[2:3], 0x10000
	v_cmp_lt_i64_e32 vcc, s[14:15], v[2:3]
	s_and_b64 s[2:3], vcc, exec
	v_mov_b32_e32 v5, 0
	s_cselect_b32 s13, s15, 0
	s_cselect_b32 s12, s14, 0x10000
	v_lshlrev_b32_e32 v4, 2, v0
	v_cmp_gt_i64_e32 vcc, s[12:13], v[4:5]
	s_and_saveexec_b64 s[16:17], vcc
	s_cbranch_execz .LBB16_4
; %bb.2:
	s_load_dword s2, s[0:1], 0xc5c
	v_sub_f32_e64 v2, 1.0, s8
	v_mov_b32_e32 v1, v5
	s_mov_b32 s19, 0
	v_lshlrev_b32_e32 v4, 3, v0
	s_waitcnt lgkmcnt(0)
	s_and_b32 s18, s2, 0xffff
	v_xor_b32_e32 v6, 0x80000000, v2
	v_cmp_lt_f32_e64 vcc, |s8|, 0.5
	s_mov_b32 s9, s8
	s_mov_b32 s22, s8
	s_mov_b32 s23, s8
	v_mov_b32_e32 v3, v2
	v_lshl_add_u64 v[4:5], s[10:11], 0, v[4:5]
	s_lshl_b32 s24, s18, 3
	s_mov_b32 s25, s19
	s_mov_b64 s[26:27], 0
	v_mov_b32_e32 v7, v6
	v_mov_b64_e32 v[8:9], v[0:1]
.LBB16_3:                               ; =>This Inner Loop Header: Depth=1
	v_lshl_add_u64 v[10:11], s[4:5], 0, v[4:5]
	v_lshl_add_u64 v[12:13], s[6:7], 0, v[4:5]
	global_load_dwordx2 v[14:15], v[10:11], off
	global_load_dwordx2 v[16:17], v[12:13], off
	v_lshl_add_u64 v[8:9], v[8:9], 0, s[18:19]
	v_lshlrev_b64 v[12:13], 2, v[8:9]
	v_cmp_le_i64_e64 s[2:3], s[12:13], v[12:13]
	v_lshl_add_u64 v[10:11], s[20:21], 0, v[4:5]
	v_lshl_add_u64 v[4:5], v[4:5], 0, s[24:25]
	s_or_b64 s[26:27], s[2:3], s[26:27]
	s_waitcnt vmcnt(1)
	v_cvt_f32_f16_sdwa v13, v15 dst_sel:DWORD dst_unused:UNUSED_PAD src0_sel:WORD_1
	v_cvt_f32_f16_e32 v12, v15
	v_cvt_f32_f16_sdwa v15, v14 dst_sel:DWORD dst_unused:UNUSED_PAD src0_sel:WORD_1
	v_cvt_f32_f16_e32 v14, v14
	s_waitcnt vmcnt(0)
	v_cvt_f32_f16_e32 v18, v16
	v_cvt_f32_f16_sdwa v19, v16 dst_sel:DWORD dst_unused:UNUSED_PAD src0_sel:WORD_1
	v_cvt_f32_f16_e32 v16, v17
	v_cvt_f32_f16_sdwa v17, v17 dst_sel:DWORD dst_unused:UNUSED_PAD src0_sel:WORD_1
	v_sub_f32_e32 v20, v18, v14
	v_sub_f32_e32 v21, v19, v15
	;; [unrolled: 1-line block ×4, first 2 shown]
	v_pk_fma_f32 v[12:13], s[22:23], v[22:23], v[12:13]
	v_pk_fma_f32 v[14:15], s[8:9], v[20:21], v[14:15]
	;; [unrolled: 1-line block ×3, first 2 shown]
	v_pk_fma_f32 v[18:19], v[2:3], v[20:21], v[18:19] neg_lo:[1,0,0] neg_hi:[1,0,0]
	v_cndmask_b32_e32 v13, v17, v13, vcc
	v_cndmask_b32_e32 v1, v19, v15, vcc
	;; [unrolled: 1-line block ×4, first 2 shown]
	v_cvt_pk_f16_f32 v13, v12, v13
	v_cvt_pk_f16_f32 v12, v14, v1
	global_store_dwordx2 v[10:11], v[12:13], off
	s_andn2_b64 exec, exec, s[26:27]
	s_cbranch_execnz .LBB16_3
.LBB16_4:
	s_or_b64 exec, exec, s[16:17]
	s_mov_b64 s[2:3], 0
.LBB16_5:
	s_andn2_b64 vcc, exec, s[2:3]
	s_cbranch_vccnz .LBB16_25
; %bb.6:
	v_cmp_lt_i64_e64 s[2:3], s[14:15], 1
	s_and_b64 vcc, exec, s[2:3]
	s_cbranch_vccnz .LBB16_25
; %bb.7:
	s_load_dword s2, s[0:1], 0xc5c
	v_mov_b64_e32 v[2:3], 0x10000
	v_cmp_lt_i64_e32 vcc, s[14:15], v[2:3]
	s_and_b64 s[0:1], vcc, exec
	s_cselect_b32 s13, s15, 0
	s_cselect_b32 s12, s14, 0x10000
	s_waitcnt lgkmcnt(0)
	s_and_b32 s2, s2, 0xffff
	v_cmp_lt_u64_e32 vcc, s[14:15], v[2:3]
	s_mov_b32 s3, 0
	v_mov_b32_e32 v1, 0
	s_and_b64 s[0:1], vcc, exec
	s_cselect_b32 s15, s15, 0
	s_cselect_b32 s14, s14, 0x10000
	s_lshl_b32 s16, s2, 2
	s_mov_b32 s17, s3
	v_lshlrev_b32_e32 v16, 1, v0
	v_mov_b32_e32 v17, v1
	v_lshl_add_u64 v[24:25], v[0:1], 0, s[2:3]
	s_lshl_b32 s22, s2, 1
	s_mov_b32 s23, s3
	s_mul_i32 s24, s2, 3
	s_mov_b32 s25, s3
	v_mad_u64_u32 v[12:13], s[26:27], s2, 6, v[16:17]
	v_lshl_add_u64 v[20:21], s[16:17], 0, v[16:17]
	v_lshlrev_b32_e32 v30, 1, v24
	v_mov_b32_e32 v31, v1
	v_cmp_lt_f32_e64 s[0:1], |s8|, 0.5
	v_sub_f32_e64 v32, 1.0, s8
	v_lshl_add_u64 v[2:3], s[4:5], 0, v[16:17]
	s_lshl_b32 s18, s2, 3
	s_mov_b32 s19, s3
	v_lshl_add_u64 v[4:5], s[6:7], 0, v[16:17]
	v_lshl_add_u64 v[6:7], s[20:21], 0, v[16:17]
	;; [unrolled: 1-line block ×13, first 2 shown]
	s_mov_b64 s[20:21], 0
	s_branch .LBB16_9
.LBB16_8:                               ;   in Loop: Header=BB16_9 Depth=1
	s_or_b64 exec, exec, s[2:3]
	s_add_u32 s20, s20, s16
	s_addc_u32 s21, s21, 0
	v_mov_b64_e32 v[34:35], s[12:13]
	v_cmp_ge_i64_e32 vcc, s[20:21], v[34:35]
	v_lshl_add_u64 v[2:3], v[2:3], 0, s[18:19]
	v_lshl_add_u64 v[4:5], v[4:5], 0, s[18:19]
	;; [unrolled: 1-line block ×12, first 2 shown]
	s_cbranch_vccnz .LBB16_25
.LBB16_9:                               ; =>This Inner Loop Header: Depth=1
	v_lshl_add_u64 v[34:35], v[0:1], 0, s[20:21]
	v_cmp_gt_u64_e32 vcc, s[14:15], v[34:35]
	v_mov_b32_e32 v35, 0
	v_mov_b32_e32 v34, 0
	s_and_saveexec_b64 s[2:3], vcc
	s_cbranch_execz .LBB16_11
; %bb.10:                               ;   in Loop: Header=BB16_9 Depth=1
	v_lshl_add_u64 v[36:37], v[2:3], 0, s[10:11]
	v_lshl_add_u64 v[34:35], v[4:5], 0, s[10:11]
	global_load_ushort v33, v[36:37], off
	global_load_ushort v38, v[34:35], off
	s_waitcnt vmcnt(1)
	v_cvt_f32_f16_e32 v34, v33
	s_waitcnt vmcnt(0)
	v_cvt_f32_f16_e32 v35, v38
.LBB16_11:                              ;   in Loop: Header=BB16_9 Depth=1
	s_or_b64 exec, exec, s[2:3]
	v_lshl_add_u64 v[36:37], v[24:25], 0, s[20:21]
	v_cmp_gt_u64_e64 s[2:3], s[14:15], v[36:37]
	v_mov_b32_e32 v33, 0
	v_mov_b32_e32 v37, 0
	;; [unrolled: 1-line block ×3, first 2 shown]
	s_and_saveexec_b64 s[4:5], s[2:3]
	s_cbranch_execz .LBB16_13
; %bb.12:                               ;   in Loop: Header=BB16_9 Depth=1
	v_lshl_add_u64 v[38:39], v[26:27], 0, s[10:11]
	v_lshl_add_u64 v[36:37], v[28:29], 0, s[10:11]
	global_load_ushort v40, v[38:39], off
	global_load_ushort v41, v[36:37], off
	s_waitcnt vmcnt(1)
	v_cvt_f32_f16_e32 v36, v40
	s_waitcnt vmcnt(0)
	v_cvt_f32_f16_e32 v37, v41
.LBB16_13:                              ;   in Loop: Header=BB16_9 Depth=1
	s_or_b64 exec, exec, s[4:5]
	v_lshl_add_u64 v[38:39], v[22:23], 0, s[20:21]
	v_cmp_gt_u64_e64 s[4:5], s[14:15], v[38:39]
	v_mov_b32_e32 v38, 0
	s_and_saveexec_b64 s[6:7], s[4:5]
	s_cbranch_execz .LBB16_15
; %bb.14:                               ;   in Loop: Header=BB16_9 Depth=1
	v_lshl_add_u64 v[40:41], v[16:17], 0, s[10:11]
	v_lshl_add_u64 v[38:39], v[18:19], 0, s[10:11]
	global_load_ushort v33, v[40:41], off
	global_load_ushort v42, v[38:39], off
	s_waitcnt vmcnt(1)
	v_cvt_f32_f16_e32 v38, v33
	s_waitcnt vmcnt(0)
	v_cvt_f32_f16_e32 v33, v42
.LBB16_15:                              ;   in Loop: Header=BB16_9 Depth=1
	s_or_b64 exec, exec, s[6:7]
	v_lshl_add_u64 v[40:41], v[14:15], 0, s[20:21]
	v_cmp_gt_u64_e64 s[6:7], s[14:15], v[40:41]
	v_mov_b32_e32 v39, 0
	v_mov_b32_e32 v40, 0
	s_and_saveexec_b64 s[22:23], s[6:7]
	s_cbranch_execnz .LBB16_20
; %bb.16:                               ;   in Loop: Header=BB16_9 Depth=1
	s_or_b64 exec, exec, s[22:23]
	s_and_saveexec_b64 s[22:23], vcc
	s_cbranch_execnz .LBB16_21
.LBB16_17:                              ;   in Loop: Header=BB16_9 Depth=1
	s_or_b64 exec, exec, s[22:23]
	s_and_saveexec_b64 s[22:23], s[2:3]
	s_cbranch_execnz .LBB16_22
.LBB16_18:                              ;   in Loop: Header=BB16_9 Depth=1
	s_or_b64 exec, exec, s[22:23]
	s_and_saveexec_b64 s[2:3], s[4:5]
	s_cbranch_execnz .LBB16_23
.LBB16_19:                              ;   in Loop: Header=BB16_9 Depth=1
	s_or_b64 exec, exec, s[2:3]
	s_and_saveexec_b64 s[2:3], s[6:7]
	s_cbranch_execz .LBB16_8
	s_branch .LBB16_24
.LBB16_20:                              ;   in Loop: Header=BB16_9 Depth=1
	v_lshl_add_u64 v[42:43], v[8:9], 0, s[10:11]
	v_lshl_add_u64 v[40:41], v[10:11], 0, s[10:11]
	global_load_ushort v39, v[42:43], off
	global_load_ushort v44, v[40:41], off
	s_waitcnt vmcnt(1)
	v_cvt_f32_f16_e32 v40, v39
	s_waitcnt vmcnt(0)
	v_cvt_f32_f16_e32 v39, v44
	s_or_b64 exec, exec, s[22:23]
	s_and_saveexec_b64 s[22:23], vcc
	s_cbranch_execz .LBB16_17
.LBB16_21:                              ;   in Loop: Header=BB16_9 Depth=1
	v_sub_f32_e32 v41, v35, v34
	v_fmac_f32_e32 v34, s8, v41
	v_fma_f32 v35, -v32, v41, v35
	v_cndmask_b32_e64 v34, v35, v34, s[0:1]
	v_cvt_f16_f32_e32 v41, v34
	v_lshl_add_u64 v[34:35], v[6:7], 0, s[10:11]
	global_store_short v[34:35], v41, off
	s_or_b64 exec, exec, s[22:23]
	s_and_saveexec_b64 s[22:23], s[2:3]
	s_cbranch_execz .LBB16_18
.LBB16_22:                              ;   in Loop: Header=BB16_9 Depth=1
	v_sub_f32_e32 v34, v37, v36
	v_fmac_f32_e32 v36, s8, v34
	v_fma_f32 v34, -v32, v34, v37
	v_cndmask_b32_e64 v34, v34, v36, s[0:1]
	v_cvt_f16_f32_e32 v36, v34
	v_lshl_add_u64 v[34:35], v[30:31], 0, s[10:11]
	global_store_short v[34:35], v36, off
	s_or_b64 exec, exec, s[22:23]
	s_and_saveexec_b64 s[2:3], s[4:5]
	s_cbranch_execz .LBB16_19
.LBB16_23:                              ;   in Loop: Header=BB16_9 Depth=1
	v_sub_f32_e32 v34, v33, v38
	v_fmac_f32_e32 v38, s8, v34
	v_fma_f32 v33, -v32, v34, v33
	v_cndmask_b32_e64 v33, v33, v38, s[0:1]
	v_cvt_f16_f32_e32 v33, v33
	v_lshl_add_u64 v[34:35], v[20:21], 0, s[10:11]
	global_store_short v[34:35], v33, off
	s_or_b64 exec, exec, s[2:3]
	s_and_saveexec_b64 s[2:3], s[6:7]
	s_cbranch_execz .LBB16_8
.LBB16_24:                              ;   in Loop: Header=BB16_9 Depth=1
	v_sub_f32_e32 v33, v39, v40
	v_fmac_f32_e32 v40, s8, v33
	v_fma_f32 v33, -v32, v33, v39
	v_cndmask_b32_e64 v33, v33, v40, s[0:1]
	v_cvt_f16_f32_e32 v33, v33
	v_lshl_add_u64 v[34:35], v[12:13], 0, s[10:11]
	global_store_short v[34:35], v33, off
	s_branch .LBB16_8
.LBB16_25:
	s_endpgm
	.section	.rodata,"a",@progbits
	.p2align	6, 0x0
	.amdhsa_kernel _ZN2at6native12_GLOBAL__N_125multi_tensor_apply_kernelINS1_18TensorListMetadataILi3EEENS1_22TernaryOpScalarFunctorIN3c104HalfELi3ELi2ELi2EEEJNS0_11LerpFunctorIfEEfEEEvT_T0_DpT1_
		.amdhsa_group_segment_fixed_size 0
		.amdhsa_private_segment_fixed_size 0
		.amdhsa_kernarg_size 3408
		.amdhsa_user_sgpr_count 2
		.amdhsa_user_sgpr_dispatch_ptr 0
		.amdhsa_user_sgpr_queue_ptr 0
		.amdhsa_user_sgpr_kernarg_segment_ptr 1
		.amdhsa_user_sgpr_dispatch_id 0
		.amdhsa_user_sgpr_kernarg_preload_length 0
		.amdhsa_user_sgpr_kernarg_preload_offset 0
		.amdhsa_user_sgpr_private_segment_size 0
		.amdhsa_uses_dynamic_stack 0
		.amdhsa_enable_private_segment 0
		.amdhsa_system_sgpr_workgroup_id_x 1
		.amdhsa_system_sgpr_workgroup_id_y 0
		.amdhsa_system_sgpr_workgroup_id_z 0
		.amdhsa_system_sgpr_workgroup_info 0
		.amdhsa_system_vgpr_workitem_id 0
		.amdhsa_next_free_vgpr 45
		.amdhsa_next_free_sgpr 28
		.amdhsa_accum_offset 48
		.amdhsa_reserve_vcc 1
		.amdhsa_float_round_mode_32 0
		.amdhsa_float_round_mode_16_64 0
		.amdhsa_float_denorm_mode_32 3
		.amdhsa_float_denorm_mode_16_64 3
		.amdhsa_dx10_clamp 1
		.amdhsa_ieee_mode 1
		.amdhsa_fp16_overflow 0
		.amdhsa_tg_split 0
		.amdhsa_exception_fp_ieee_invalid_op 0
		.amdhsa_exception_fp_denorm_src 0
		.amdhsa_exception_fp_ieee_div_zero 0
		.amdhsa_exception_fp_ieee_overflow 0
		.amdhsa_exception_fp_ieee_underflow 0
		.amdhsa_exception_fp_ieee_inexact 0
		.amdhsa_exception_int_div_zero 0
	.end_amdhsa_kernel
	.section	.text._ZN2at6native12_GLOBAL__N_125multi_tensor_apply_kernelINS1_18TensorListMetadataILi3EEENS1_22TernaryOpScalarFunctorIN3c104HalfELi3ELi2ELi2EEEJNS0_11LerpFunctorIfEEfEEEvT_T0_DpT1_,"axG",@progbits,_ZN2at6native12_GLOBAL__N_125multi_tensor_apply_kernelINS1_18TensorListMetadataILi3EEENS1_22TernaryOpScalarFunctorIN3c104HalfELi3ELi2ELi2EEEJNS0_11LerpFunctorIfEEfEEEvT_T0_DpT1_,comdat
.Lfunc_end16:
	.size	_ZN2at6native12_GLOBAL__N_125multi_tensor_apply_kernelINS1_18TensorListMetadataILi3EEENS1_22TernaryOpScalarFunctorIN3c104HalfELi3ELi2ELi2EEEJNS0_11LerpFunctorIfEEfEEEvT_T0_DpT1_, .Lfunc_end16-_ZN2at6native12_GLOBAL__N_125multi_tensor_apply_kernelINS1_18TensorListMetadataILi3EEENS1_22TernaryOpScalarFunctorIN3c104HalfELi3ELi2ELi2EEEJNS0_11LerpFunctorIfEEfEEEvT_T0_DpT1_
                                        ; -- End function
	.set _ZN2at6native12_GLOBAL__N_125multi_tensor_apply_kernelINS1_18TensorListMetadataILi3EEENS1_22TernaryOpScalarFunctorIN3c104HalfELi3ELi2ELi2EEEJNS0_11LerpFunctorIfEEfEEEvT_T0_DpT1_.num_vgpr, 45
	.set _ZN2at6native12_GLOBAL__N_125multi_tensor_apply_kernelINS1_18TensorListMetadataILi3EEENS1_22TernaryOpScalarFunctorIN3c104HalfELi3ELi2ELi2EEEJNS0_11LerpFunctorIfEEfEEEvT_T0_DpT1_.num_agpr, 0
	.set _ZN2at6native12_GLOBAL__N_125multi_tensor_apply_kernelINS1_18TensorListMetadataILi3EEENS1_22TernaryOpScalarFunctorIN3c104HalfELi3ELi2ELi2EEEJNS0_11LerpFunctorIfEEfEEEvT_T0_DpT1_.numbered_sgpr, 28
	.set _ZN2at6native12_GLOBAL__N_125multi_tensor_apply_kernelINS1_18TensorListMetadataILi3EEENS1_22TernaryOpScalarFunctorIN3c104HalfELi3ELi2ELi2EEEJNS0_11LerpFunctorIfEEfEEEvT_T0_DpT1_.num_named_barrier, 0
	.set _ZN2at6native12_GLOBAL__N_125multi_tensor_apply_kernelINS1_18TensorListMetadataILi3EEENS1_22TernaryOpScalarFunctorIN3c104HalfELi3ELi2ELi2EEEJNS0_11LerpFunctorIfEEfEEEvT_T0_DpT1_.private_seg_size, 0
	.set _ZN2at6native12_GLOBAL__N_125multi_tensor_apply_kernelINS1_18TensorListMetadataILi3EEENS1_22TernaryOpScalarFunctorIN3c104HalfELi3ELi2ELi2EEEJNS0_11LerpFunctorIfEEfEEEvT_T0_DpT1_.uses_vcc, 1
	.set _ZN2at6native12_GLOBAL__N_125multi_tensor_apply_kernelINS1_18TensorListMetadataILi3EEENS1_22TernaryOpScalarFunctorIN3c104HalfELi3ELi2ELi2EEEJNS0_11LerpFunctorIfEEfEEEvT_T0_DpT1_.uses_flat_scratch, 0
	.set _ZN2at6native12_GLOBAL__N_125multi_tensor_apply_kernelINS1_18TensorListMetadataILi3EEENS1_22TernaryOpScalarFunctorIN3c104HalfELi3ELi2ELi2EEEJNS0_11LerpFunctorIfEEfEEEvT_T0_DpT1_.has_dyn_sized_stack, 0
	.set _ZN2at6native12_GLOBAL__N_125multi_tensor_apply_kernelINS1_18TensorListMetadataILi3EEENS1_22TernaryOpScalarFunctorIN3c104HalfELi3ELi2ELi2EEEJNS0_11LerpFunctorIfEEfEEEvT_T0_DpT1_.has_recursion, 0
	.set _ZN2at6native12_GLOBAL__N_125multi_tensor_apply_kernelINS1_18TensorListMetadataILi3EEENS1_22TernaryOpScalarFunctorIN3c104HalfELi3ELi2ELi2EEEJNS0_11LerpFunctorIfEEfEEEvT_T0_DpT1_.has_indirect_call, 0
	.section	.AMDGPU.csdata,"",@progbits
; Kernel info:
; codeLenInByte = 1612
; TotalNumSgprs: 34
; NumVgprs: 45
; NumAgprs: 0
; TotalNumVgprs: 45
; ScratchSize: 0
; MemoryBound: 0
; FloatMode: 240
; IeeeMode: 1
; LDSByteSize: 0 bytes/workgroup (compile time only)
; SGPRBlocks: 4
; VGPRBlocks: 5
; NumSGPRsForWavesPerEU: 34
; NumVGPRsForWavesPerEU: 45
; AccumOffset: 48
; Occupancy: 8
; WaveLimiterHint : 0
; COMPUTE_PGM_RSRC2:SCRATCH_EN: 0
; COMPUTE_PGM_RSRC2:USER_SGPR: 2
; COMPUTE_PGM_RSRC2:TRAP_HANDLER: 0
; COMPUTE_PGM_RSRC2:TGID_X_EN: 1
; COMPUTE_PGM_RSRC2:TGID_Y_EN: 0
; COMPUTE_PGM_RSRC2:TGID_Z_EN: 0
; COMPUTE_PGM_RSRC2:TIDIG_COMP_CNT: 0
; COMPUTE_PGM_RSRC3_GFX90A:ACCUM_OFFSET: 11
; COMPUTE_PGM_RSRC3_GFX90A:TG_SPLIT: 0
	.section	.text._ZN2at6native12_GLOBAL__N_125multi_tensor_apply_kernelINS1_18TensorListMetadataILi3EEENS1_22TernaryOpScalarFunctorIN3c108BFloat16ELi3ELi2ELi2EEEJNS0_11LerpFunctorIfEEfEEEvT_T0_DpT1_,"axG",@progbits,_ZN2at6native12_GLOBAL__N_125multi_tensor_apply_kernelINS1_18TensorListMetadataILi3EEENS1_22TernaryOpScalarFunctorIN3c108BFloat16ELi3ELi2ELi2EEEJNS0_11LerpFunctorIfEEfEEEvT_T0_DpT1_,comdat
	.globl	_ZN2at6native12_GLOBAL__N_125multi_tensor_apply_kernelINS1_18TensorListMetadataILi3EEENS1_22TernaryOpScalarFunctorIN3c108BFloat16ELi3ELi2ELi2EEEJNS0_11LerpFunctorIfEEfEEEvT_T0_DpT1_ ; -- Begin function _ZN2at6native12_GLOBAL__N_125multi_tensor_apply_kernelINS1_18TensorListMetadataILi3EEENS1_22TernaryOpScalarFunctorIN3c108BFloat16ELi3ELi2ELi2EEEJNS0_11LerpFunctorIfEEfEEEvT_T0_DpT1_
	.p2align	8
	.type	_ZN2at6native12_GLOBAL__N_125multi_tensor_apply_kernelINS1_18TensorListMetadataILi3EEENS1_22TernaryOpScalarFunctorIN3c108BFloat16ELi3ELi2ELi2EEEJNS0_11LerpFunctorIfEEfEEEvT_T0_DpT1_,@function
_ZN2at6native12_GLOBAL__N_125multi_tensor_apply_kernelINS1_18TensorListMetadataILi3EEENS1_22TernaryOpScalarFunctorIN3c108BFloat16ELi3ELi2ELi2EEEJNS0_11LerpFunctorIfEEfEEEvT_T0_DpT1_: ; @_ZN2at6native12_GLOBAL__N_125multi_tensor_apply_kernelINS1_18TensorListMetadataILi3EEENS1_22TernaryOpScalarFunctorIN3c108BFloat16ELi3ELi2ELi2EEEJNS0_11LerpFunctorIfEEfEEEvT_T0_DpT1_
; %bb.0:
	v_mov_b32_e32 v1, s2
	global_load_ubyte v1, v1, s[0:1] offset:1536
	s_add_u32 s4, s0, s2
	s_mul_hi_u32 s7, s2, 3
	s_mul_i32 s2, s2, 3
	s_addc_u32 s8, s1, 0
	s_add_u32 s6, s4, s2
	s_addc_u32 s7, s8, s7
	s_load_dword s28, s[0:1], 0xc4c
	s_load_dword s10, s[6:7], 0x740
	s_mov_b32 s3, 0
	s_mov_b32 s5, s3
	s_waitcnt lgkmcnt(0)
	s_ashr_i32 s11, s10, 31
	s_lshl_b64 s[8:9], s[10:11], 17
	s_waitcnt vmcnt(0)
	v_readfirstlane_b32 s2, v1
	s_lshl_b32 s2, s2, 3
	s_load_dwordx2 s[6:7], s[0:1], s2 offset:0x480
	s_load_dwordx2 s[18:19], s[0:1], s2 offset:0x0
	;; [unrolled: 1-line block ×4, first 2 shown]
	s_waitcnt lgkmcnt(0)
	s_and_b32 s2, s18, 7
	s_add_u32 s4, s20, s8
	s_or_b32 s4, s22, s4
	s_and_b32 s4, s4, 7
	s_cmp_lg_u32 s4, 0
	s_cselect_b64 s[12:13], -1, 0
	s_lshl_b64 s[10:11], s[10:11], 16
	s_sub_u32 s14, s6, s10
	s_subb_u32 s15, s7, s11
	s_and_b32 s4, s6, 3
	s_or_b64 s[2:3], s[2:3], s[4:5]
	s_cmp_lg_u64 s[2:3], 0
	s_cselect_b64 s[2:3], -1, 0
	s_or_b64 s[2:3], s[12:13], s[2:3]
	s_andn2_b64 vcc, exec, s[2:3]
	s_mov_b64 s[2:3], -1
	s_cbranch_vccz .LBB17_5
; %bb.1:
	v_mov_b64_e32 v[4:5], 0x10000
	v_cmp_lt_i64_e32 vcc, s[14:15], v[4:5]
	s_and_b64 s[2:3], vcc, exec
	v_mov_b32_e32 v3, 0
	s_cselect_b32 s11, s15, 0
	s_cselect_b32 s10, s14, 0x10000
	v_lshlrev_b32_e32 v2, 2, v0
	v_cmp_gt_i64_e32 vcc, s[10:11], v[2:3]
	s_and_saveexec_b64 s[12:13], vcc
	s_cbranch_execz .LBB17_4
; %bb.2:
	s_load_dword s2, s[0:1], 0xc5c
	v_mov_b32_e32 v1, v3
	s_mov_b32 s17, 0
	v_lshlrev_b32_e32 v2, 3, v0
	v_cmp_lt_f32_e64 vcc, |s28|, 0.5
	s_waitcnt lgkmcnt(0)
	s_and_b32 s16, s2, 0xffff
	v_sub_f32_e64 v6, 1.0, s28
	v_lshl_add_u64 v[2:3], s[8:9], 0, v[2:3]
	s_lshl_b32 s24, s16, 3
	s_mov_b32 s25, s17
	s_mov_b64 s[26:27], 0
	s_movk_i32 s29, 0x7fff
	v_mov_b32_e32 v7, 0x7fc0
	v_mov_b32_e32 v8, 0x7fc00000
	v_mov_b64_e32 v[4:5], v[0:1]
.LBB17_3:                               ; =>This Inner Loop Header: Depth=1
	v_lshl_add_u64 v[10:11], s[18:19], 0, v[2:3]
	v_lshl_add_u64 v[12:13], s[20:21], 0, v[2:3]
	global_load_dwordx2 v[14:15], v[10:11], off
	global_load_dwordx2 v[16:17], v[12:13], off
	v_lshl_add_u64 v[4:5], v[4:5], 0, s[16:17]
	v_lshlrev_b64 v[12:13], 2, v[4:5]
	v_cmp_le_i64_e64 s[2:3], s[10:11], v[12:13]
	s_or_b64 s[26:27], s[2:3], s[26:27]
	v_lshl_add_u64 v[10:11], s[22:23], 0, v[2:3]
	v_lshl_add_u64 v[2:3], v[2:3], 0, s[24:25]
	s_waitcnt vmcnt(1)
	v_lshlrev_b32_e32 v1, 16, v14
	s_waitcnt vmcnt(0)
	v_lshlrev_b32_e32 v9, 16, v16
	v_and_b32_e32 v12, 0xffff0000, v14
	v_and_b32_e32 v13, 0xffff0000, v16
	v_alignbit_b32 v14, v15, v14, 16
	v_alignbit_b32 v16, v17, v16, 16
	v_and_b32_e32 v15, 0xffff0000, v15
	v_and_b32_e32 v17, 0xffff0000, v17
	v_sub_f32_e32 v18, v9, v1
	v_sub_f32_e32 v19, v13, v12
	v_and_b32_e32 v14, 0xffff0000, v14
	v_and_b32_e32 v16, 0xffff0000, v16
	v_sub_f32_e32 v20, v17, v15
	v_fmac_f32_e32 v1, s28, v18
	v_fma_f32 v9, -v6, v18, v9
	v_fmac_f32_e32 v12, s28, v19
	v_fma_f32 v13, -v6, v19, v13
	v_sub_f32_e32 v18, v16, v14
	v_fmac_f32_e32 v15, s28, v20
	v_fma_f32 v17, -v6, v20, v17
	v_cndmask_b32_e32 v1, v9, v1, vcc
	v_cndmask_b32_e32 v9, v13, v12, vcc
	v_fmac_f32_e32 v14, s28, v18
	v_fma_f32 v12, -v6, v18, v16
	v_cndmask_b32_e32 v13, v17, v15, vcc
	v_bfe_u32 v15, v1, 16, 1
	v_bfe_u32 v16, v9, 16, 1
	v_cndmask_b32_e32 v12, v12, v14, vcc
	v_bfe_u32 v14, v13, 16, 1
	v_add3_u32 v15, v1, v15, s29
	v_add3_u32 v16, v9, v16, s29
	v_bfe_u32 v17, v12, 16, 1
	v_add3_u32 v14, v13, v14, s29
	v_lshrrev_b32_e32 v15, 16, v15
	v_and_b32_e32 v16, 0xffff0000, v16
	v_cmp_o_f32_e64 s[2:3], v9, v9
	v_add3_u32 v9, v12, v17, s29
	v_cmp_o_f32_e64 s[6:7], v1, v1
	v_and_b32_e32 v14, 0xffff0000, v14
	v_cmp_o_f32_e64 s[4:5], v13, v13
	v_cndmask_b32_e64 v1, v7, v15, s[6:7]
	v_cndmask_b32_e64 v13, v8, v16, s[2:3]
	v_lshrrev_b32_e32 v9, 16, v9
	v_cmp_o_f32_e64 s[2:3], v12, v12
	v_cndmask_b32_e64 v12, v8, v14, s[4:5]
	v_or_b32_e32 v1, v1, v13
	v_cndmask_b32_e64 v9, v7, v9, s[2:3]
	v_or3_b32 v13, 0, v9, v12
	v_or3_b32 v12, v1, 0, 0
	global_store_dwordx2 v[10:11], v[12:13], off
	s_andn2_b64 exec, exec, s[26:27]
	s_cbranch_execnz .LBB17_3
.LBB17_4:
	s_or_b64 exec, exec, s[12:13]
	s_mov_b64 s[2:3], 0
.LBB17_5:
	s_andn2_b64 vcc, exec, s[2:3]
	s_cbranch_vccnz .LBB17_25
; %bb.6:
	v_cmp_lt_i64_e64 s[2:3], s[14:15], 1
	s_and_b64 vcc, exec, s[2:3]
	s_cbranch_vccnz .LBB17_25
; %bb.7:
	s_load_dword s0, s[0:1], 0xc5c
	v_mov_b64_e32 v[4:5], 0x10000
	v_cmp_lt_i64_e32 vcc, s[14:15], v[4:5]
	s_and_b64 s[2:3], vcc, exec
	s_mov_b32 s11, 0
	s_cselect_b32 s13, s15, 0
	s_cselect_b32 s12, s14, 0x10000
	v_mov_b32_e32 v2, 0
	s_waitcnt lgkmcnt(0)
	s_and_b32 s2, s0, 0xffff
	v_cmp_lt_u64_e32 vcc, s[14:15], v[4:5]
	v_mov_b32_e32 v1, v2
	s_and_b64 s[0:1], vcc, exec
	s_mov_b32 s3, s11
	s_cselect_b32 s15, s15, 0
	s_cselect_b32 s14, s14, 0x10000
	s_lshl_b32 s10, s2, 2
	v_lshlrev_b32_e32 v18, 1, v0
	v_mov_b32_e32 v19, v2
	v_lshl_add_u64 v[26:27], v[0:1], 0, s[2:3]
	s_lshl_b32 s4, s2, 1
	s_mov_b32 s5, s11
	s_mul_i32 s6, s2, 3
	s_mov_b32 s7, s11
	v_mad_u64_u32 v[14:15], s[24:25], s2, 6, v[18:19]
	v_lshl_add_u64 v[22:23], s[10:11], 0, v[18:19]
	v_lshlrev_b32_e32 v32, 1, v26
	v_mov_b32_e32 v33, v2
	v_cmp_lt_f32_e64 s[0:1], |s28|, 0.5
	v_sub_f32_e64 v38, 1.0, s28
	v_lshl_add_u64 v[4:5], s[18:19], 0, v[18:19]
	s_lshl_b32 s16, s2, 3
	s_mov_b32 s17, s11
	v_lshl_add_u64 v[6:7], s[20:21], 0, v[18:19]
	v_lshl_add_u64 v[8:9], s[22:23], 0, v[18:19]
	;; [unrolled: 1-line block ×13, first 2 shown]
	s_mov_b64 s[18:19], 0
	s_movk_i32 s22, 0x7fff
	v_mov_b32_e32 v39, 0x7fc0
	s_branch .LBB17_9
.LBB17_8:                               ;   in Loop: Header=BB17_9 Depth=1
	s_or_b64 exec, exec, s[2:3]
	s_add_u32 s18, s18, s10
	s_addc_u32 s19, s19, 0
	v_mov_b64_e32 v[34:35], s[12:13]
	v_cmp_ge_i64_e32 vcc, s[18:19], v[34:35]
	v_lshl_add_u64 v[4:5], v[4:5], 0, s[16:17]
	v_lshl_add_u64 v[6:7], v[6:7], 0, s[16:17]
	;; [unrolled: 1-line block ×12, first 2 shown]
	s_cbranch_vccnz .LBB17_25
.LBB17_9:                               ; =>This Inner Loop Header: Depth=1
	v_lshl_add_u64 v[34:35], v[0:1], 0, s[18:19]
	v_cmp_gt_u64_e32 vcc, s[14:15], v[34:35]
	v_mov_b64_e32 v[34:35], 0
	v_mov_b64_e32 v[36:37], 0
	s_and_saveexec_b64 s[2:3], vcc
	s_cbranch_execz .LBB17_11
; %bb.10:                               ;   in Loop: Header=BB17_9 Depth=1
	v_lshl_add_u64 v[36:37], v[4:5], 0, s[8:9]
	v_lshl_add_u64 v[34:35], v[6:7], 0, s[8:9]
	global_load_ushort v3, v[36:37], off
	global_load_ushort v40, v[34:35], off
	v_mov_b32_e32 v37, s11
	v_mov_b32_e32 v35, s11
	s_waitcnt vmcnt(1)
	v_and_b32_e32 v36, 0xffff, v3
	s_waitcnt vmcnt(0)
	v_and_b32_e32 v34, 0xffff, v40
.LBB17_11:                              ;   in Loop: Header=BB17_9 Depth=1
	s_or_b64 exec, exec, s[2:3]
	v_lshl_add_u64 v[40:41], v[26:27], 0, s[18:19]
	v_cmp_gt_u64_e64 s[2:3], s[14:15], v[40:41]
	s_and_saveexec_b64 s[4:5], s[2:3]
	s_cbranch_execz .LBB17_13
; %bb.12:                               ;   in Loop: Header=BB17_9 Depth=1
	v_lshl_add_u64 v[40:41], v[28:29], 0, s[8:9]
	global_load_ushort v3, v[40:41], off
	v_lshl_add_u64 v[40:41], v[30:31], 0, s[8:9]
	global_load_ushort v40, v[40:41], off
	s_waitcnt vmcnt(1)
	v_lshl_or_b32 v36, v3, 16, v36
	s_waitcnt vmcnt(0)
	v_lshl_or_b32 v34, v40, 16, v34
.LBB17_13:                              ;   in Loop: Header=BB17_9 Depth=1
	s_or_b64 exec, exec, s[4:5]
	v_lshl_add_u64 v[40:41], v[24:25], 0, s[18:19]
	v_cmp_gt_u64_e64 s[4:5], s[14:15], v[40:41]
	v_cmp_le_u64_e64 s[6:7], s[14:15], v[40:41]
	s_and_saveexec_b64 s[20:21], s[6:7]
	s_xor_b64 s[6:7], exec, s[20:21]
	s_andn2_saveexec_b64 s[6:7], s[6:7]
	s_cbranch_execz .LBB17_15
; %bb.14:                               ;   in Loop: Header=BB17_9 Depth=1
	v_lshl_add_u64 v[40:41], v[18:19], 0, s[8:9]
	global_load_ushort v3, v[40:41], off
	v_lshl_add_u64 v[40:41], v[20:21], 0, s[8:9]
	global_load_ushort v40, v[40:41], off
	s_waitcnt vmcnt(1)
	v_or_b32_e32 v37, v3, v37
	s_waitcnt vmcnt(0)
	v_or_b32_e32 v35, v40, v35
.LBB17_15:                              ;   in Loop: Header=BB17_9 Depth=1
	s_or_b64 exec, exec, s[6:7]
	v_lshl_add_u64 v[40:41], v[16:17], 0, s[18:19]
	v_cmp_gt_u64_e64 s[6:7], s[14:15], v[40:41]
	s_and_saveexec_b64 s[20:21], s[6:7]
	s_cbranch_execnz .LBB17_20
; %bb.16:                               ;   in Loop: Header=BB17_9 Depth=1
	s_or_b64 exec, exec, s[20:21]
	s_and_saveexec_b64 s[20:21], vcc
	s_cbranch_execnz .LBB17_21
.LBB17_17:                              ;   in Loop: Header=BB17_9 Depth=1
	s_or_b64 exec, exec, s[20:21]
	s_and_saveexec_b64 s[20:21], s[2:3]
	s_cbranch_execnz .LBB17_22
.LBB17_18:                              ;   in Loop: Header=BB17_9 Depth=1
	s_or_b64 exec, exec, s[20:21]
	s_and_saveexec_b64 s[2:3], s[4:5]
	s_cbranch_execnz .LBB17_23
.LBB17_19:                              ;   in Loop: Header=BB17_9 Depth=1
	s_or_b64 exec, exec, s[2:3]
	s_and_saveexec_b64 s[2:3], s[6:7]
	s_cbranch_execz .LBB17_8
	s_branch .LBB17_24
.LBB17_20:                              ;   in Loop: Header=BB17_9 Depth=1
	v_lshl_add_u64 v[40:41], v[10:11], 0, s[8:9]
	global_load_ushort v3, v[40:41], off
	v_lshl_add_u64 v[40:41], v[12:13], 0, s[8:9]
	global_load_ushort v40, v[40:41], off
	s_waitcnt vmcnt(1)
	v_lshlrev_b32_e32 v41, 16, v3
	v_or_b32_e32 v37, v41, v37
	s_waitcnt vmcnt(0)
	v_lshlrev_b32_e32 v3, 16, v40
	v_lshl_add_u64 v[34:35], v[2:3], 0, v[34:35]
	s_or_b64 exec, exec, s[20:21]
	s_and_saveexec_b64 s[20:21], vcc
	s_cbranch_execz .LBB17_17
.LBB17_21:                              ;   in Loop: Header=BB17_9 Depth=1
	v_lshlrev_b32_e32 v3, 16, v34
	v_lshlrev_b32_e32 v40, 16, v36
	v_sub_f32_e32 v41, v3, v40
	v_fmac_f32_e32 v40, s28, v41
	v_fma_f32 v3, -v38, v41, v3
	v_cndmask_b32_e64 v3, v3, v40, s[0:1]
	v_bfe_u32 v40, v3, 16, 1
	v_add3_u32 v42, v3, v40, s22
	v_cmp_o_f32_e32 vcc, v3, v3
	v_lshl_add_u64 v[40:41], v[8:9], 0, s[8:9]
	s_nop 0
	v_cndmask_b32_sdwa v3, v39, v42, vcc dst_sel:DWORD dst_unused:UNUSED_PAD src0_sel:DWORD src1_sel:WORD_1
	global_store_short v[40:41], v3, off
	s_or_b64 exec, exec, s[20:21]
	s_and_saveexec_b64 s[20:21], s[2:3]
	s_cbranch_execz .LBB17_18
.LBB17_22:                              ;   in Loop: Header=BB17_9 Depth=1
	v_and_b32_e32 v3, 0xffff0000, v36
	v_and_b32_e32 v40, 0xffff0000, v34
	v_sub_f32_e32 v41, v40, v3
	v_fmac_f32_e32 v3, s28, v41
	v_fma_f32 v40, -v38, v41, v40
	v_cndmask_b32_e64 v3, v40, v3, s[0:1]
	v_bfe_u32 v40, v3, 16, 1
	v_add3_u32 v40, v3, v40, s22
	v_cmp_o_f32_e32 vcc, v3, v3
	s_nop 1
	v_cndmask_b32_sdwa v3, v39, v40, vcc dst_sel:DWORD dst_unused:UNUSED_PAD src0_sel:DWORD src1_sel:WORD_1
	v_lshl_add_u64 v[40:41], v[32:33], 0, s[8:9]
	global_store_short v[40:41], v3, off
	s_or_b64 exec, exec, s[20:21]
	s_and_saveexec_b64 s[2:3], s[4:5]
	s_cbranch_execz .LBB17_19
.LBB17_23:                              ;   in Loop: Header=BB17_9 Depth=1
	v_alignbit_b32 v3, v37, v36, 16
	v_alignbit_b32 v34, v35, v34, 16
	v_and_b32_e32 v3, 0xffff0000, v3
	v_and_b32_e32 v34, 0xffff0000, v34
	v_sub_f32_e32 v36, v34, v3
	v_fmac_f32_e32 v3, s28, v36
	v_fma_f32 v34, -v38, v36, v34
	v_cndmask_b32_e64 v3, v34, v3, s[0:1]
	v_bfe_u32 v34, v3, 16, 1
	v_add3_u32 v34, v3, v34, s22
	v_cmp_o_f32_e32 vcc, v3, v3
	v_lshl_add_u64 v[40:41], v[22:23], 0, s[8:9]
	s_nop 0
	v_cndmask_b32_sdwa v3, v39, v34, vcc dst_sel:DWORD dst_unused:UNUSED_PAD src0_sel:DWORD src1_sel:WORD_1
	global_store_short v[40:41], v3, off
	s_or_b64 exec, exec, s[2:3]
	s_and_saveexec_b64 s[2:3], s[6:7]
	s_cbranch_execz .LBB17_8
.LBB17_24:                              ;   in Loop: Header=BB17_9 Depth=1
	v_and_b32_e32 v3, 0xffff0000, v37
	v_and_b32_e32 v34, 0xffff0000, v35
	v_sub_f32_e32 v35, v34, v3
	v_fmac_f32_e32 v3, s28, v35
	v_fma_f32 v34, -v38, v35, v34
	v_cndmask_b32_e64 v3, v34, v3, s[0:1]
	v_bfe_u32 v34, v3, 16, 1
	v_add3_u32 v34, v3, v34, s22
	v_cmp_o_f32_e32 vcc, v3, v3
	s_nop 1
	v_cndmask_b32_sdwa v3, v39, v34, vcc dst_sel:DWORD dst_unused:UNUSED_PAD src0_sel:DWORD src1_sel:WORD_1
	v_lshl_add_u64 v[34:35], v[14:15], 0, s[8:9]
	global_store_short v[34:35], v3, off
	s_branch .LBB17_8
.LBB17_25:
	s_endpgm
	.section	.rodata,"a",@progbits
	.p2align	6, 0x0
	.amdhsa_kernel _ZN2at6native12_GLOBAL__N_125multi_tensor_apply_kernelINS1_18TensorListMetadataILi3EEENS1_22TernaryOpScalarFunctorIN3c108BFloat16ELi3ELi2ELi2EEEJNS0_11LerpFunctorIfEEfEEEvT_T0_DpT1_
		.amdhsa_group_segment_fixed_size 0
		.amdhsa_private_segment_fixed_size 0
		.amdhsa_kernarg_size 3408
		.amdhsa_user_sgpr_count 2
		.amdhsa_user_sgpr_dispatch_ptr 0
		.amdhsa_user_sgpr_queue_ptr 0
		.amdhsa_user_sgpr_kernarg_segment_ptr 1
		.amdhsa_user_sgpr_dispatch_id 0
		.amdhsa_user_sgpr_kernarg_preload_length 0
		.amdhsa_user_sgpr_kernarg_preload_offset 0
		.amdhsa_user_sgpr_private_segment_size 0
		.amdhsa_uses_dynamic_stack 0
		.amdhsa_enable_private_segment 0
		.amdhsa_system_sgpr_workgroup_id_x 1
		.amdhsa_system_sgpr_workgroup_id_y 0
		.amdhsa_system_sgpr_workgroup_id_z 0
		.amdhsa_system_sgpr_workgroup_info 0
		.amdhsa_system_vgpr_workitem_id 0
		.amdhsa_next_free_vgpr 43
		.amdhsa_next_free_sgpr 30
		.amdhsa_accum_offset 44
		.amdhsa_reserve_vcc 1
		.amdhsa_float_round_mode_32 0
		.amdhsa_float_round_mode_16_64 0
		.amdhsa_float_denorm_mode_32 3
		.amdhsa_float_denorm_mode_16_64 3
		.amdhsa_dx10_clamp 1
		.amdhsa_ieee_mode 1
		.amdhsa_fp16_overflow 0
		.amdhsa_tg_split 0
		.amdhsa_exception_fp_ieee_invalid_op 0
		.amdhsa_exception_fp_denorm_src 0
		.amdhsa_exception_fp_ieee_div_zero 0
		.amdhsa_exception_fp_ieee_overflow 0
		.amdhsa_exception_fp_ieee_underflow 0
		.amdhsa_exception_fp_ieee_inexact 0
		.amdhsa_exception_int_div_zero 0
	.end_amdhsa_kernel
	.section	.text._ZN2at6native12_GLOBAL__N_125multi_tensor_apply_kernelINS1_18TensorListMetadataILi3EEENS1_22TernaryOpScalarFunctorIN3c108BFloat16ELi3ELi2ELi2EEEJNS0_11LerpFunctorIfEEfEEEvT_T0_DpT1_,"axG",@progbits,_ZN2at6native12_GLOBAL__N_125multi_tensor_apply_kernelINS1_18TensorListMetadataILi3EEENS1_22TernaryOpScalarFunctorIN3c108BFloat16ELi3ELi2ELi2EEEJNS0_11LerpFunctorIfEEfEEEvT_T0_DpT1_,comdat
.Lfunc_end17:
	.size	_ZN2at6native12_GLOBAL__N_125multi_tensor_apply_kernelINS1_18TensorListMetadataILi3EEENS1_22TernaryOpScalarFunctorIN3c108BFloat16ELi3ELi2ELi2EEEJNS0_11LerpFunctorIfEEfEEEvT_T0_DpT1_, .Lfunc_end17-_ZN2at6native12_GLOBAL__N_125multi_tensor_apply_kernelINS1_18TensorListMetadataILi3EEENS1_22TernaryOpScalarFunctorIN3c108BFloat16ELi3ELi2ELi2EEEJNS0_11LerpFunctorIfEEfEEEvT_T0_DpT1_
                                        ; -- End function
	.set _ZN2at6native12_GLOBAL__N_125multi_tensor_apply_kernelINS1_18TensorListMetadataILi3EEENS1_22TernaryOpScalarFunctorIN3c108BFloat16ELi3ELi2ELi2EEEJNS0_11LerpFunctorIfEEfEEEvT_T0_DpT1_.num_vgpr, 43
	.set _ZN2at6native12_GLOBAL__N_125multi_tensor_apply_kernelINS1_18TensorListMetadataILi3EEENS1_22TernaryOpScalarFunctorIN3c108BFloat16ELi3ELi2ELi2EEEJNS0_11LerpFunctorIfEEfEEEvT_T0_DpT1_.num_agpr, 0
	.set _ZN2at6native12_GLOBAL__N_125multi_tensor_apply_kernelINS1_18TensorListMetadataILi3EEENS1_22TernaryOpScalarFunctorIN3c108BFloat16ELi3ELi2ELi2EEEJNS0_11LerpFunctorIfEEfEEEvT_T0_DpT1_.numbered_sgpr, 30
	.set _ZN2at6native12_GLOBAL__N_125multi_tensor_apply_kernelINS1_18TensorListMetadataILi3EEENS1_22TernaryOpScalarFunctorIN3c108BFloat16ELi3ELi2ELi2EEEJNS0_11LerpFunctorIfEEfEEEvT_T0_DpT1_.num_named_barrier, 0
	.set _ZN2at6native12_GLOBAL__N_125multi_tensor_apply_kernelINS1_18TensorListMetadataILi3EEENS1_22TernaryOpScalarFunctorIN3c108BFloat16ELi3ELi2ELi2EEEJNS0_11LerpFunctorIfEEfEEEvT_T0_DpT1_.private_seg_size, 0
	.set _ZN2at6native12_GLOBAL__N_125multi_tensor_apply_kernelINS1_18TensorListMetadataILi3EEENS1_22TernaryOpScalarFunctorIN3c108BFloat16ELi3ELi2ELi2EEEJNS0_11LerpFunctorIfEEfEEEvT_T0_DpT1_.uses_vcc, 1
	.set _ZN2at6native12_GLOBAL__N_125multi_tensor_apply_kernelINS1_18TensorListMetadataILi3EEENS1_22TernaryOpScalarFunctorIN3c108BFloat16ELi3ELi2ELi2EEEJNS0_11LerpFunctorIfEEfEEEvT_T0_DpT1_.uses_flat_scratch, 0
	.set _ZN2at6native12_GLOBAL__N_125multi_tensor_apply_kernelINS1_18TensorListMetadataILi3EEENS1_22TernaryOpScalarFunctorIN3c108BFloat16ELi3ELi2ELi2EEEJNS0_11LerpFunctorIfEEfEEEvT_T0_DpT1_.has_dyn_sized_stack, 0
	.set _ZN2at6native12_GLOBAL__N_125multi_tensor_apply_kernelINS1_18TensorListMetadataILi3EEENS1_22TernaryOpScalarFunctorIN3c108BFloat16ELi3ELi2ELi2EEEJNS0_11LerpFunctorIfEEfEEEvT_T0_DpT1_.has_recursion, 0
	.set _ZN2at6native12_GLOBAL__N_125multi_tensor_apply_kernelINS1_18TensorListMetadataILi3EEENS1_22TernaryOpScalarFunctorIN3c108BFloat16ELi3ELi2ELi2EEEJNS0_11LerpFunctorIfEEfEEEvT_T0_DpT1_.has_indirect_call, 0
	.section	.AMDGPU.csdata,"",@progbits
; Kernel info:
; codeLenInByte = 2028
; TotalNumSgprs: 36
; NumVgprs: 43
; NumAgprs: 0
; TotalNumVgprs: 43
; ScratchSize: 0
; MemoryBound: 0
; FloatMode: 240
; IeeeMode: 1
; LDSByteSize: 0 bytes/workgroup (compile time only)
; SGPRBlocks: 4
; VGPRBlocks: 5
; NumSGPRsForWavesPerEU: 36
; NumVGPRsForWavesPerEU: 43
; AccumOffset: 44
; Occupancy: 8
; WaveLimiterHint : 0
; COMPUTE_PGM_RSRC2:SCRATCH_EN: 0
; COMPUTE_PGM_RSRC2:USER_SGPR: 2
; COMPUTE_PGM_RSRC2:TRAP_HANDLER: 0
; COMPUTE_PGM_RSRC2:TGID_X_EN: 1
; COMPUTE_PGM_RSRC2:TGID_Y_EN: 0
; COMPUTE_PGM_RSRC2:TGID_Z_EN: 0
; COMPUTE_PGM_RSRC2:TIDIG_COMP_CNT: 0
; COMPUTE_PGM_RSRC3_GFX90A:ACCUM_OFFSET: 10
; COMPUTE_PGM_RSRC3_GFX90A:TG_SPLIT: 0
	.section	.text._ZN2at6native12_GLOBAL__N_125multi_tensor_apply_kernelINS1_18TensorListMetadataILi2EEENS1_22TernaryOpScalarFunctorIdLi2ELi2ELi0EEEJNS0_11LerpFunctorIdEEdEEEvT_T0_DpT1_,"axG",@progbits,_ZN2at6native12_GLOBAL__N_125multi_tensor_apply_kernelINS1_18TensorListMetadataILi2EEENS1_22TernaryOpScalarFunctorIdLi2ELi2ELi0EEEJNS0_11LerpFunctorIdEEdEEEvT_T0_DpT1_,comdat
	.globl	_ZN2at6native12_GLOBAL__N_125multi_tensor_apply_kernelINS1_18TensorListMetadataILi2EEENS1_22TernaryOpScalarFunctorIdLi2ELi2ELi0EEEJNS0_11LerpFunctorIdEEdEEEvT_T0_DpT1_ ; -- Begin function _ZN2at6native12_GLOBAL__N_125multi_tensor_apply_kernelINS1_18TensorListMetadataILi2EEENS1_22TernaryOpScalarFunctorIdLi2ELi2ELi0EEEJNS0_11LerpFunctorIdEEdEEEvT_T0_DpT1_
	.p2align	8
	.type	_ZN2at6native12_GLOBAL__N_125multi_tensor_apply_kernelINS1_18TensorListMetadataILi2EEENS1_22TernaryOpScalarFunctorIdLi2ELi2ELi0EEEJNS0_11LerpFunctorIdEEdEEEvT_T0_DpT1_,@function
_ZN2at6native12_GLOBAL__N_125multi_tensor_apply_kernelINS1_18TensorListMetadataILi2EEENS1_22TernaryOpScalarFunctorIdLi2ELi2ELi0EEEJNS0_11LerpFunctorIdEEdEEEvT_T0_DpT1_: ; @_ZN2at6native12_GLOBAL__N_125multi_tensor_apply_kernelINS1_18TensorListMetadataILi2EEENS1_22TernaryOpScalarFunctorIdLi2ELi2ELi0EEEJNS0_11LerpFunctorIdEEdEEEvT_T0_DpT1_
; %bb.0:
	v_mov_b32_e32 v1, s2
	global_load_ubyte v1, v1, s[0:1] offset:1536
	s_add_u32 s4, s0, s2
	s_mul_hi_u32 s5, s2, 3
	s_mul_i32 s2, s2, 3
	s_addc_u32 s6, s1, 0
	s_add_u32 s4, s4, s2
	s_addc_u32 s5, s6, s5
	s_load_dword s14, s[4:5], 0x740
	s_mov_b32 s3, 0
	s_mov_b32 s13, s3
	s_waitcnt lgkmcnt(0)
	s_ashr_i32 s15, s14, 31
	s_lshl_b64 s[10:11], s[14:15], 19
	s_lshl_b64 s[14:15], s[14:15], 16
	s_waitcnt vmcnt(0)
	v_readfirstlane_b32 s2, v1
	s_lshl_b32 s2, s2, 3
	s_load_dwordx2 s[8:9], s[0:1], 0xc50
	s_load_dwordx2 s[16:17], s[0:1], s2 offset:0x400
	s_load_dwordx2 s[4:5], s[0:1], s2 offset:0x0
	;; [unrolled: 1-line block ×3, first 2 shown]
	s_waitcnt lgkmcnt(0)
	s_add_u32 s2, s4, s10
	s_and_b32 s12, s6, 31
	s_and_b32 s2, s2, 31
	s_sub_u32 s14, s16, s14
	s_subb_u32 s15, s17, s15
	s_and_b32 s16, s16, 3
	s_mov_b32 s17, s3
	s_or_b64 s[12:13], s[12:13], s[16:17]
	s_or_b64 s[2:3], s[12:13], s[2:3]
	s_cmp_eq_u64 s[2:3], 0
	s_mov_b64 s[2:3], -1
	s_cbranch_scc0 .LBB18_5
; %bb.1:
	v_mov_b64_e32 v[2:3], 0x10000
	v_cmp_lt_i64_e32 vcc, s[14:15], v[2:3]
	s_and_b64 s[2:3], vcc, exec
	v_mov_b32_e32 v5, 0
	s_cselect_b32 s13, s15, 0
	s_cselect_b32 s12, s14, 0x10000
	v_lshlrev_b32_e32 v4, 2, v0
	v_cmp_gt_i64_e32 vcc, s[12:13], v[4:5]
	s_and_saveexec_b64 s[16:17], vcc
	s_cbranch_execz .LBB18_4
; %bb.2:
	s_load_dword s2, s[0:1], 0xc64
	v_mov_b32_e32 v1, v5
	s_mov_b32 s19, 0
	v_lshlrev_b32_e32 v4, 5, v0
	v_cmp_lt_f64_e64 vcc, |s[8:9]|, 0.5
	s_waitcnt lgkmcnt(0)
	s_and_b32 s18, s2, 0xffff
	v_add_f64 v[2:3], -s[8:9], 1.0
	v_lshl_add_u64 v[4:5], s[10:11], 0, v[4:5]
	s_lshl_b32 s20, s18, 5
	s_mov_b32 s21, s19
	s_mov_b64 s[22:23], 0
	v_mov_b64_e32 v[6:7], v[0:1]
.LBB18_3:                               ; =>This Inner Loop Header: Depth=1
	v_lshl_add_u64 v[26:27], s[6:7], 0, v[4:5]
	v_lshl_add_u64 v[24:25], s[4:5], 0, v[4:5]
	global_load_dwordx4 v[8:11], v[26:27], off
	global_load_dwordx4 v[12:15], v[24:25], off
	global_load_dwordx4 v[16:19], v[24:25], off offset:16
	global_load_dwordx4 v[20:23], v[26:27], off offset:16
	v_lshl_add_u64 v[6:7], v[6:7], 0, s[18:19]
	v_lshlrev_b64 v[26:27], 2, v[6:7]
	v_cmp_le_i64_e64 s[2:3], s[12:13], v[26:27]
	v_lshl_add_u64 v[4:5], v[4:5], 0, s[20:21]
	s_or_b64 s[22:23], s[2:3], s[22:23]
	s_waitcnt vmcnt(2)
	v_add_f64 v[26:27], v[8:9], -v[12:13]
	v_add_f64 v[28:29], v[10:11], -v[14:15]
	s_waitcnt vmcnt(0)
	v_add_f64 v[30:31], v[20:21], -v[16:17]
	v_add_f64 v[32:33], v[22:23], -v[18:19]
	v_fmac_f64_e32 v[12:13], s[8:9], v[26:27]
	v_fma_f64 v[8:9], -v[2:3], v[26:27], v[8:9]
	v_fmac_f64_e32 v[14:15], s[8:9], v[28:29]
	v_fma_f64 v[10:11], -v[2:3], v[28:29], v[10:11]
	;; [unrolled: 2-line block ×4, first 2 shown]
	v_cndmask_b32_e32 v9, v9, v13, vcc
	v_cndmask_b32_e32 v8, v8, v12, vcc
	;; [unrolled: 1-line block ×8, first 2 shown]
	global_store_dwordx4 v[24:25], v[8:11], off
	global_store_dwordx4 v[24:25], v[12:15], off offset:16
	s_andn2_b64 exec, exec, s[22:23]
	s_cbranch_execnz .LBB18_3
.LBB18_4:
	s_or_b64 exec, exec, s[16:17]
	s_mov_b64 s[2:3], 0
.LBB18_5:
	s_andn2_b64 vcc, exec, s[2:3]
	s_cbranch_vccnz .LBB18_25
; %bb.6:
	v_cmp_lt_i64_e64 s[2:3], s[14:15], 1
	s_and_b64 vcc, exec, s[2:3]
	s_cbranch_vccnz .LBB18_25
; %bb.7:
	s_load_dword s2, s[0:1], 0xc64
	v_mov_b64_e32 v[2:3], 0x10000
	v_cmp_lt_i64_e32 vcc, s[14:15], v[2:3]
	s_and_b64 s[0:1], vcc, exec
	s_mov_b32 s3, 0
	s_cselect_b32 s13, s15, 0
	s_cselect_b32 s12, s14, 0x10000
	s_waitcnt lgkmcnt(0)
	s_and_b32 s2, s2, 0xffff
	v_cmp_lt_u64_e32 vcc, s[14:15], v[2:3]
	v_mov_b32_e32 v1, 0
	s_and_b64 s[0:1], vcc, exec
	s_mul_i32 s20, s2, 3
	s_mov_b32 s21, s3
	s_cselect_b32 s15, s15, 0
	s_cselect_b32 s14, s14, 0x10000
	v_lshlrev_b32_e32 v14, 3, v0
	v_mov_b32_e32 v15, v1
	v_lshl_add_u64 v[12:13], s[20:21], 0, v[0:1]
	s_lshl_b32 s20, s2, 4
	v_lshl_add_u64 v[20:21], v[0:1], 0, s[2:3]
	s_lshl_b32 s18, s2, 1
	s_mov_b32 s19, s3
	v_mad_u64_u32 v[10:11], s[24:25], s2, 24, v[14:15]
	v_lshl_add_u64 v[16:17], s[20:21], 0, v[14:15]
	v_lshlrev_b32_e32 v24, 3, v20
	v_mov_b32_e32 v25, v1
	v_cmp_lt_f64_e64 s[0:1], |s[8:9]|, 0.5
	v_add_f64 v[2:3], -s[8:9], 1.0
	s_lshl_b32 s22, s2, 2
	v_lshl_add_u64 v[4:5], s[4:5], 0, v[14:15]
	s_lshl_b32 s16, s2, 5
	s_mov_b32 s17, s3
	v_lshl_add_u64 v[6:7], s[6:7], 0, v[14:15]
	v_lshl_add_u64 v[8:9], s[4:5], 0, v[10:11]
	;; [unrolled: 1-line block ×8, first 2 shown]
	s_mov_b64 s[18:19], 0
	s_branch .LBB18_9
.LBB18_8:                               ;   in Loop: Header=BB18_9 Depth=1
	s_or_b64 exec, exec, s[2:3]
	s_add_u32 s18, s18, s22
	s_addc_u32 s19, s19, 0
	s_waitcnt vmcnt(0)
	v_mov_b64_e32 v[26:27], s[12:13]
	v_cmp_ge_i64_e32 vcc, s[18:19], v[26:27]
	v_lshl_add_u64 v[4:5], v[4:5], 0, s[16:17]
	v_lshl_add_u64 v[6:7], v[6:7], 0, s[16:17]
	;; [unrolled: 1-line block ×8, first 2 shown]
	s_cbranch_vccnz .LBB18_25
.LBB18_9:                               ; =>This Inner Loop Header: Depth=1
	v_lshl_add_u64 v[26:27], v[0:1], 0, s[18:19]
	v_cmp_gt_u64_e32 vcc, s[14:15], v[26:27]
	v_mov_b64_e32 v[26:27], 0
	v_mov_b64_e32 v[32:33], 0
	;; [unrolled: 1-line block ×3, first 2 shown]
	s_and_saveexec_b64 s[2:3], vcc
	s_cbranch_execz .LBB18_11
; %bb.10:                               ;   in Loop: Header=BB18_9 Depth=1
	v_lshl_add_u64 v[34:35], v[4:5], 0, s[10:11]
	v_lshl_add_u64 v[28:29], v[6:7], 0, s[10:11]
	global_load_dwordx2 v[30:31], v[34:35], off
	global_load_dwordx2 v[32:33], v[28:29], off
.LBB18_11:                              ;   in Loop: Header=BB18_9 Depth=1
	s_or_b64 exec, exec, s[2:3]
	v_lshl_add_u64 v[28:29], v[20:21], 0, s[18:19]
	v_cmp_gt_u64_e64 s[2:3], s[14:15], v[28:29]
	v_mov_b64_e32 v[34:35], 0
	s_and_saveexec_b64 s[4:5], s[2:3]
	s_cbranch_execz .LBB18_13
; %bb.12:                               ;   in Loop: Header=BB18_9 Depth=1
	v_lshl_add_u64 v[36:37], v[22:23], 0, s[10:11]
	v_lshl_add_u64 v[28:29], v[24:25], 0, s[10:11]
	global_load_dwordx2 v[34:35], v[36:37], off
	global_load_dwordx2 v[26:27], v[28:29], off
.LBB18_13:                              ;   in Loop: Header=BB18_9 Depth=1
	s_or_b64 exec, exec, s[4:5]
	v_lshl_add_u64 v[28:29], v[18:19], 0, s[18:19]
	v_cmp_gt_u64_e64 s[4:5], s[14:15], v[28:29]
	v_mov_b64_e32 v[28:29], 0
	v_mov_b64_e32 v[38:39], 0
	;; [unrolled: 1-line block ×3, first 2 shown]
	s_and_saveexec_b64 s[6:7], s[4:5]
	s_cbranch_execz .LBB18_15
; %bb.14:                               ;   in Loop: Header=BB18_9 Depth=1
	v_lshl_add_u64 v[42:43], v[14:15], 0, s[10:11]
	v_lshl_add_u64 v[40:41], v[16:17], 0, s[10:11]
	global_load_dwordx2 v[36:37], v[42:43], off
	global_load_dwordx2 v[38:39], v[40:41], off
.LBB18_15:                              ;   in Loop: Header=BB18_9 Depth=1
	s_or_b64 exec, exec, s[6:7]
	v_lshl_add_u64 v[40:41], v[12:13], 0, s[18:19]
	v_cmp_gt_u64_e64 s[6:7], s[14:15], v[40:41]
	v_mov_b64_e32 v[40:41], 0
	s_and_saveexec_b64 s[20:21], s[6:7]
	s_cbranch_execnz .LBB18_20
; %bb.16:                               ;   in Loop: Header=BB18_9 Depth=1
	s_or_b64 exec, exec, s[20:21]
	s_and_saveexec_b64 s[20:21], vcc
	s_cbranch_execnz .LBB18_21
.LBB18_17:                              ;   in Loop: Header=BB18_9 Depth=1
	s_or_b64 exec, exec, s[20:21]
	s_and_saveexec_b64 s[20:21], s[2:3]
	s_cbranch_execnz .LBB18_22
.LBB18_18:                              ;   in Loop: Header=BB18_9 Depth=1
	s_or_b64 exec, exec, s[20:21]
	s_and_saveexec_b64 s[2:3], s[4:5]
	s_cbranch_execnz .LBB18_23
.LBB18_19:                              ;   in Loop: Header=BB18_9 Depth=1
	s_or_b64 exec, exec, s[2:3]
	s_and_saveexec_b64 s[2:3], s[6:7]
	s_cbranch_execz .LBB18_8
	s_branch .LBB18_24
.LBB18_20:                              ;   in Loop: Header=BB18_9 Depth=1
	v_lshl_add_u64 v[44:45], v[8:9], 0, s[10:11]
	v_lshl_add_u64 v[42:43], v[10:11], 0, s[10:11]
	global_load_dwordx2 v[40:41], v[44:45], off
	global_load_dwordx2 v[28:29], v[42:43], off
	s_or_b64 exec, exec, s[20:21]
	s_and_saveexec_b64 s[20:21], vcc
	s_cbranch_execz .LBB18_17
.LBB18_21:                              ;   in Loop: Header=BB18_9 Depth=1
	s_waitcnt vmcnt(0)
	v_add_f64 v[44:45], v[32:33], -v[30:31]
	v_fmac_f64_e32 v[30:31], s[8:9], v[44:45]
	v_fma_f64 v[32:33], -v[2:3], v[44:45], v[32:33]
	v_lshl_add_u64 v[42:43], v[4:5], 0, s[10:11]
	v_cndmask_b32_e64 v31, v33, v31, s[0:1]
	v_cndmask_b32_e64 v30, v32, v30, s[0:1]
	global_store_dwordx2 v[42:43], v[30:31], off
	s_or_b64 exec, exec, s[20:21]
	s_and_saveexec_b64 s[20:21], s[2:3]
	s_cbranch_execz .LBB18_18
.LBB18_22:                              ;   in Loop: Header=BB18_9 Depth=1
	s_waitcnt vmcnt(0)
	v_add_f64 v[30:31], v[26:27], -v[34:35]
	v_fmac_f64_e32 v[34:35], s[8:9], v[30:31]
	v_fma_f64 v[26:27], -v[2:3], v[30:31], v[26:27]
	v_cndmask_b32_e64 v27, v27, v35, s[0:1]
	v_cndmask_b32_e64 v26, v26, v34, s[0:1]
	v_lshl_add_u64 v[30:31], v[22:23], 0, s[10:11]
	global_store_dwordx2 v[30:31], v[26:27], off
	s_or_b64 exec, exec, s[20:21]
	s_and_saveexec_b64 s[2:3], s[4:5]
	s_cbranch_execz .LBB18_19
.LBB18_23:                              ;   in Loop: Header=BB18_9 Depth=1
	s_waitcnt vmcnt(0)
	v_add_f64 v[26:27], v[38:39], -v[36:37]
	v_fmac_f64_e32 v[36:37], s[8:9], v[26:27]
	v_fma_f64 v[26:27], -v[2:3], v[26:27], v[38:39]
	v_cndmask_b32_e64 v27, v27, v37, s[0:1]
	v_cndmask_b32_e64 v26, v26, v36, s[0:1]
	v_lshl_add_u64 v[30:31], v[14:15], 0, s[10:11]
	global_store_dwordx2 v[30:31], v[26:27], off
	s_or_b64 exec, exec, s[2:3]
	s_and_saveexec_b64 s[2:3], s[6:7]
	s_cbranch_execz .LBB18_8
.LBB18_24:                              ;   in Loop: Header=BB18_9 Depth=1
	s_waitcnt vmcnt(0)
	v_add_f64 v[26:27], v[28:29], -v[40:41]
	v_fmac_f64_e32 v[40:41], s[8:9], v[26:27]
	v_fma_f64 v[26:27], -v[2:3], v[26:27], v[28:29]
	v_cndmask_b32_e64 v27, v27, v41, s[0:1]
	v_cndmask_b32_e64 v26, v26, v40, s[0:1]
	v_lshl_add_u64 v[28:29], v[8:9], 0, s[10:11]
	global_store_dwordx2 v[28:29], v[26:27], off
	s_branch .LBB18_8
.LBB18_25:
	s_endpgm
	.section	.rodata,"a",@progbits
	.p2align	6, 0x0
	.amdhsa_kernel _ZN2at6native12_GLOBAL__N_125multi_tensor_apply_kernelINS1_18TensorListMetadataILi2EEENS1_22TernaryOpScalarFunctorIdLi2ELi2ELi0EEEJNS0_11LerpFunctorIdEEdEEEvT_T0_DpT1_
		.amdhsa_group_segment_fixed_size 0
		.amdhsa_private_segment_fixed_size 0
		.amdhsa_kernarg_size 3416
		.amdhsa_user_sgpr_count 2
		.amdhsa_user_sgpr_dispatch_ptr 0
		.amdhsa_user_sgpr_queue_ptr 0
		.amdhsa_user_sgpr_kernarg_segment_ptr 1
		.amdhsa_user_sgpr_dispatch_id 0
		.amdhsa_user_sgpr_kernarg_preload_length 0
		.amdhsa_user_sgpr_kernarg_preload_offset 0
		.amdhsa_user_sgpr_private_segment_size 0
		.amdhsa_uses_dynamic_stack 0
		.amdhsa_enable_private_segment 0
		.amdhsa_system_sgpr_workgroup_id_x 1
		.amdhsa_system_sgpr_workgroup_id_y 0
		.amdhsa_system_sgpr_workgroup_id_z 0
		.amdhsa_system_sgpr_workgroup_info 0
		.amdhsa_system_vgpr_workitem_id 0
		.amdhsa_next_free_vgpr 46
		.amdhsa_next_free_sgpr 26
		.amdhsa_accum_offset 48
		.amdhsa_reserve_vcc 1
		.amdhsa_float_round_mode_32 0
		.amdhsa_float_round_mode_16_64 0
		.amdhsa_float_denorm_mode_32 3
		.amdhsa_float_denorm_mode_16_64 3
		.amdhsa_dx10_clamp 1
		.amdhsa_ieee_mode 1
		.amdhsa_fp16_overflow 0
		.amdhsa_tg_split 0
		.amdhsa_exception_fp_ieee_invalid_op 0
		.amdhsa_exception_fp_denorm_src 0
		.amdhsa_exception_fp_ieee_div_zero 0
		.amdhsa_exception_fp_ieee_overflow 0
		.amdhsa_exception_fp_ieee_underflow 0
		.amdhsa_exception_fp_ieee_inexact 0
		.amdhsa_exception_int_div_zero 0
	.end_amdhsa_kernel
	.section	.text._ZN2at6native12_GLOBAL__N_125multi_tensor_apply_kernelINS1_18TensorListMetadataILi2EEENS1_22TernaryOpScalarFunctorIdLi2ELi2ELi0EEEJNS0_11LerpFunctorIdEEdEEEvT_T0_DpT1_,"axG",@progbits,_ZN2at6native12_GLOBAL__N_125multi_tensor_apply_kernelINS1_18TensorListMetadataILi2EEENS1_22TernaryOpScalarFunctorIdLi2ELi2ELi0EEEJNS0_11LerpFunctorIdEEdEEEvT_T0_DpT1_,comdat
.Lfunc_end18:
	.size	_ZN2at6native12_GLOBAL__N_125multi_tensor_apply_kernelINS1_18TensorListMetadataILi2EEENS1_22TernaryOpScalarFunctorIdLi2ELi2ELi0EEEJNS0_11LerpFunctorIdEEdEEEvT_T0_DpT1_, .Lfunc_end18-_ZN2at6native12_GLOBAL__N_125multi_tensor_apply_kernelINS1_18TensorListMetadataILi2EEENS1_22TernaryOpScalarFunctorIdLi2ELi2ELi0EEEJNS0_11LerpFunctorIdEEdEEEvT_T0_DpT1_
                                        ; -- End function
	.set _ZN2at6native12_GLOBAL__N_125multi_tensor_apply_kernelINS1_18TensorListMetadataILi2EEENS1_22TernaryOpScalarFunctorIdLi2ELi2ELi0EEEJNS0_11LerpFunctorIdEEdEEEvT_T0_DpT1_.num_vgpr, 46
	.set _ZN2at6native12_GLOBAL__N_125multi_tensor_apply_kernelINS1_18TensorListMetadataILi2EEENS1_22TernaryOpScalarFunctorIdLi2ELi2ELi0EEEJNS0_11LerpFunctorIdEEdEEEvT_T0_DpT1_.num_agpr, 0
	.set _ZN2at6native12_GLOBAL__N_125multi_tensor_apply_kernelINS1_18TensorListMetadataILi2EEENS1_22TernaryOpScalarFunctorIdLi2ELi2ELi0EEEJNS0_11LerpFunctorIdEEdEEEvT_T0_DpT1_.numbered_sgpr, 26
	.set _ZN2at6native12_GLOBAL__N_125multi_tensor_apply_kernelINS1_18TensorListMetadataILi2EEENS1_22TernaryOpScalarFunctorIdLi2ELi2ELi0EEEJNS0_11LerpFunctorIdEEdEEEvT_T0_DpT1_.num_named_barrier, 0
	.set _ZN2at6native12_GLOBAL__N_125multi_tensor_apply_kernelINS1_18TensorListMetadataILi2EEENS1_22TernaryOpScalarFunctorIdLi2ELi2ELi0EEEJNS0_11LerpFunctorIdEEdEEEvT_T0_DpT1_.private_seg_size, 0
	.set _ZN2at6native12_GLOBAL__N_125multi_tensor_apply_kernelINS1_18TensorListMetadataILi2EEENS1_22TernaryOpScalarFunctorIdLi2ELi2ELi0EEEJNS0_11LerpFunctorIdEEdEEEvT_T0_DpT1_.uses_vcc, 1
	.set _ZN2at6native12_GLOBAL__N_125multi_tensor_apply_kernelINS1_18TensorListMetadataILi2EEENS1_22TernaryOpScalarFunctorIdLi2ELi2ELi0EEEJNS0_11LerpFunctorIdEEdEEEvT_T0_DpT1_.uses_flat_scratch, 0
	.set _ZN2at6native12_GLOBAL__N_125multi_tensor_apply_kernelINS1_18TensorListMetadataILi2EEENS1_22TernaryOpScalarFunctorIdLi2ELi2ELi0EEEJNS0_11LerpFunctorIdEEdEEEvT_T0_DpT1_.has_dyn_sized_stack, 0
	.set _ZN2at6native12_GLOBAL__N_125multi_tensor_apply_kernelINS1_18TensorListMetadataILi2EEENS1_22TernaryOpScalarFunctorIdLi2ELi2ELi0EEEJNS0_11LerpFunctorIdEEdEEEvT_T0_DpT1_.has_recursion, 0
	.set _ZN2at6native12_GLOBAL__N_125multi_tensor_apply_kernelINS1_18TensorListMetadataILi2EEENS1_22TernaryOpScalarFunctorIdLi2ELi2ELi0EEEJNS0_11LerpFunctorIdEEdEEEvT_T0_DpT1_.has_indirect_call, 0
	.section	.AMDGPU.csdata,"",@progbits
; Kernel info:
; codeLenInByte = 1484
; TotalNumSgprs: 32
; NumVgprs: 46
; NumAgprs: 0
; TotalNumVgprs: 46
; ScratchSize: 0
; MemoryBound: 0
; FloatMode: 240
; IeeeMode: 1
; LDSByteSize: 0 bytes/workgroup (compile time only)
; SGPRBlocks: 3
; VGPRBlocks: 5
; NumSGPRsForWavesPerEU: 32
; NumVGPRsForWavesPerEU: 46
; AccumOffset: 48
; Occupancy: 8
; WaveLimiterHint : 0
; COMPUTE_PGM_RSRC2:SCRATCH_EN: 0
; COMPUTE_PGM_RSRC2:USER_SGPR: 2
; COMPUTE_PGM_RSRC2:TRAP_HANDLER: 0
; COMPUTE_PGM_RSRC2:TGID_X_EN: 1
; COMPUTE_PGM_RSRC2:TGID_Y_EN: 0
; COMPUTE_PGM_RSRC2:TGID_Z_EN: 0
; COMPUTE_PGM_RSRC2:TIDIG_COMP_CNT: 0
; COMPUTE_PGM_RSRC3_GFX90A:ACCUM_OFFSET: 11
; COMPUTE_PGM_RSRC3_GFX90A:TG_SPLIT: 0
	.section	.text._ZN2at6native12_GLOBAL__N_125multi_tensor_apply_kernelINS1_18TensorListMetadataILi2EEENS1_22TernaryOpScalarFunctorIfLi2ELi2ELi0EEEJNS0_11LerpFunctorIfEEfEEEvT_T0_DpT1_,"axG",@progbits,_ZN2at6native12_GLOBAL__N_125multi_tensor_apply_kernelINS1_18TensorListMetadataILi2EEENS1_22TernaryOpScalarFunctorIfLi2ELi2ELi0EEEJNS0_11LerpFunctorIfEEfEEEvT_T0_DpT1_,comdat
	.globl	_ZN2at6native12_GLOBAL__N_125multi_tensor_apply_kernelINS1_18TensorListMetadataILi2EEENS1_22TernaryOpScalarFunctorIfLi2ELi2ELi0EEEJNS0_11LerpFunctorIfEEfEEEvT_T0_DpT1_ ; -- Begin function _ZN2at6native12_GLOBAL__N_125multi_tensor_apply_kernelINS1_18TensorListMetadataILi2EEENS1_22TernaryOpScalarFunctorIfLi2ELi2ELi0EEEJNS0_11LerpFunctorIfEEfEEEvT_T0_DpT1_
	.p2align	8
	.type	_ZN2at6native12_GLOBAL__N_125multi_tensor_apply_kernelINS1_18TensorListMetadataILi2EEENS1_22TernaryOpScalarFunctorIfLi2ELi2ELi0EEEJNS0_11LerpFunctorIfEEfEEEvT_T0_DpT1_,@function
_ZN2at6native12_GLOBAL__N_125multi_tensor_apply_kernelINS1_18TensorListMetadataILi2EEENS1_22TernaryOpScalarFunctorIfLi2ELi2ELi0EEEJNS0_11LerpFunctorIfEEfEEEvT_T0_DpT1_: ; @_ZN2at6native12_GLOBAL__N_125multi_tensor_apply_kernelINS1_18TensorListMetadataILi2EEENS1_22TernaryOpScalarFunctorIfLi2ELi2ELi0EEEJNS0_11LerpFunctorIfEEfEEEvT_T0_DpT1_
; %bb.0:
	v_mov_b32_e32 v1, s2
	global_load_ubyte v1, v1, s[0:1] offset:1536
	s_add_u32 s4, s0, s2
	s_mul_hi_u32 s5, s2, 3
	s_mul_i32 s2, s2, 3
	s_addc_u32 s6, s1, 0
	s_add_u32 s4, s4, s2
	s_addc_u32 s5, s6, s5
	s_load_dword s14, s[4:5], 0x740
	s_mov_b32 s3, 0
	s_mov_b32 s13, s3
	s_waitcnt lgkmcnt(0)
	s_ashr_i32 s15, s14, 31
	s_lshl_b64 s[10:11], s[14:15], 18
	s_lshl_b64 s[14:15], s[14:15], 16
	s_waitcnt vmcnt(0)
	v_readfirstlane_b32 s2, v1
	s_lshl_b32 s2, s2, 3
	s_load_dword s8, s[0:1], 0xc4c
	s_load_dwordx2 s[16:17], s[0:1], s2 offset:0x400
	s_load_dwordx2 s[4:5], s[0:1], s2 offset:0x0
	;; [unrolled: 1-line block ×3, first 2 shown]
	s_waitcnt lgkmcnt(0)
	s_add_u32 s2, s4, s10
	s_and_b32 s12, s6, 15
	s_and_b32 s2, s2, 15
	s_sub_u32 s14, s16, s14
	s_subb_u32 s15, s17, s15
	s_and_b32 s16, s16, 3
	s_mov_b32 s17, s3
	s_or_b64 s[12:13], s[12:13], s[16:17]
	s_or_b64 s[2:3], s[12:13], s[2:3]
	s_cmp_eq_u64 s[2:3], 0
	s_mov_b64 s[2:3], -1
	s_cbranch_scc0 .LBB19_5
; %bb.1:
	v_mov_b64_e32 v[2:3], 0x10000
	v_cmp_lt_i64_e32 vcc, s[14:15], v[2:3]
	s_and_b64 s[2:3], vcc, exec
	v_mov_b32_e32 v5, 0
	s_cselect_b32 s13, s15, 0
	s_cselect_b32 s12, s14, 0x10000
	v_lshlrev_b32_e32 v4, 2, v0
	v_cmp_gt_i64_e32 vcc, s[12:13], v[4:5]
	s_and_saveexec_b64 s[16:17], vcc
	s_cbranch_execz .LBB19_4
; %bb.2:
	s_load_dword s2, s[0:1], 0xc5c
	v_mov_b32_e32 v1, v5
	v_sub_f32_e64 v2, 1.0, s8
	s_mov_b32 s19, 0
	v_lshlrev_b32_e32 v4, 4, v0
	s_waitcnt lgkmcnt(0)
	s_and_b32 s18, s2, 0xffff
	s_lshl_b32 s20, s18, 4
	s_add_u32 s22, s4, 8
	v_cmp_lt_f32_e64 vcc, |s8|, 0.5
	s_mov_b32 s9, s8
	v_mov_b32_e32 v3, v2
	v_lshl_add_u64 v[4:5], s[10:11], 0, v[4:5]
	s_mov_b32 s21, s19
	s_addc_u32 s23, s5, 0
	s_mov_b64 s[24:25], 0
	v_mov_b64_e32 v[6:7], v[0:1]
.LBB19_3:                               ; =>This Inner Loop Header: Depth=1
	v_lshl_add_u64 v[16:17], s[22:23], 0, v[4:5]
	v_lshl_add_u64 v[18:19], s[6:7], 0, v[4:5]
	global_load_dwordx4 v[8:11], v[16:17], off offset:-8
	global_load_dwordx4 v[12:15], v[18:19], off
	v_lshl_add_u64 v[6:7], v[6:7], 0, s[18:19]
	v_lshlrev_b64 v[18:19], 2, v[6:7]
	v_cmp_le_i64_e64 s[2:3], s[12:13], v[18:19]
	v_lshl_add_u64 v[4:5], v[4:5], 0, s[20:21]
	s_or_b64 s[24:25], s[2:3], s[24:25]
	s_waitcnt vmcnt(0)
	v_pk_add_f32 v[18:19], v[12:13], v[8:9] neg_lo:[0,1] neg_hi:[0,1]
	v_pk_add_f32 v[20:21], v[14:15], v[10:11] neg_lo:[0,1] neg_hi:[0,1]
	v_pk_fma_f32 v[8:9], s[8:9], v[18:19], v[8:9]
	v_pk_fma_f32 v[12:13], v[2:3], v[18:19], v[12:13] neg_lo:[1,0,0] neg_hi:[1,0,0]
	v_pk_fma_f32 v[10:11], s[8:9], v[20:21], v[10:11]
	v_pk_fma_f32 v[14:15], v[2:3], v[20:21], v[14:15] neg_lo:[1,0,0] neg_hi:[1,0,0]
	v_cndmask_b32_e32 v9, v13, v9, vcc
	v_cndmask_b32_e32 v8, v12, v8, vcc
	;; [unrolled: 1-line block ×4, first 2 shown]
	global_store_dwordx4 v[16:17], v[8:11], off offset:-8
	s_andn2_b64 exec, exec, s[24:25]
	s_cbranch_execnz .LBB19_3
.LBB19_4:
	s_or_b64 exec, exec, s[16:17]
	s_mov_b64 s[2:3], 0
.LBB19_5:
	s_andn2_b64 vcc, exec, s[2:3]
	s_cbranch_vccnz .LBB19_25
; %bb.6:
	v_cmp_lt_i64_e64 s[2:3], s[14:15], 1
	s_and_b64 vcc, exec, s[2:3]
	s_cbranch_vccnz .LBB19_25
; %bb.7:
	s_load_dword s2, s[0:1], 0xc5c
	v_mov_b64_e32 v[2:3], 0x10000
	v_cmp_lt_i64_e32 vcc, s[14:15], v[2:3]
	s_and_b64 s[0:1], vcc, exec
	s_mov_b32 s3, 0
	s_cselect_b32 s13, s15, 0
	s_cselect_b32 s12, s14, 0x10000
	s_waitcnt lgkmcnt(0)
	s_and_b32 s2, s2, 0xffff
	v_cmp_lt_u64_e32 vcc, s[14:15], v[2:3]
	v_mov_b32_e32 v1, 0
	s_and_b64 s[0:1], vcc, exec
	s_mul_i32 s20, s2, 3
	s_mov_b32 s21, s3
	s_cselect_b32 s15, s15, 0
	s_cselect_b32 s14, s14, 0x10000
	v_lshlrev_b32_e32 v12, 2, v0
	v_mov_b32_e32 v13, v1
	v_lshl_add_u64 v[10:11], s[20:21], 0, v[0:1]
	s_lshl_b32 s20, s2, 3
	v_lshl_add_u64 v[18:19], v[0:1], 0, s[2:3]
	s_lshl_b32 s18, s2, 1
	s_mov_b32 s19, s3
	v_mad_u64_u32 v[8:9], s[22:23], s2, 12, v[12:13]
	v_lshl_add_u64 v[14:15], s[20:21], 0, v[12:13]
	v_lshlrev_b32_e32 v22, 2, v18
	v_mov_b32_e32 v23, v1
	v_cmp_lt_f32_e64 s[0:1], |s8|, 0.5
	v_sub_f32_e64 v24, 1.0, s8
	s_lshl_b32 s9, s2, 2
	v_lshl_add_u64 v[2:3], s[4:5], 0, v[12:13]
	s_lshl_b32 s16, s2, 4
	s_mov_b32 s17, s3
	v_lshl_add_u64 v[4:5], s[6:7], 0, v[12:13]
	v_lshl_add_u64 v[6:7], s[4:5], 0, v[8:9]
	;; [unrolled: 1-line block ×8, first 2 shown]
	s_mov_b64 s[18:19], 0
	s_branch .LBB19_9
.LBB19_8:                               ;   in Loop: Header=BB19_9 Depth=1
	s_or_b64 exec, exec, s[2:3]
	s_add_u32 s18, s18, s9
	s_addc_u32 s19, s19, 0
	s_waitcnt vmcnt(0)
	v_mov_b64_e32 v[26:27], s[12:13]
	v_cmp_ge_i64_e32 vcc, s[18:19], v[26:27]
	v_lshl_add_u64 v[2:3], v[2:3], 0, s[16:17]
	v_lshl_add_u64 v[4:5], v[4:5], 0, s[16:17]
	;; [unrolled: 1-line block ×8, first 2 shown]
	s_cbranch_vccnz .LBB19_25
.LBB19_9:                               ; =>This Inner Loop Header: Depth=1
	v_lshl_add_u64 v[26:27], v[0:1], 0, s[18:19]
	v_cmp_gt_u64_e32 vcc, s[14:15], v[26:27]
	v_mov_b32_e32 v27, 0
	v_mov_b32_e32 v26, 0
	s_and_saveexec_b64 s[2:3], vcc
	s_cbranch_execz .LBB19_11
; %bb.10:                               ;   in Loop: Header=BB19_9 Depth=1
	v_lshl_add_u64 v[30:31], v[2:3], 0, s[10:11]
	v_lshl_add_u64 v[28:29], v[4:5], 0, s[10:11]
	global_load_dword v26, v[30:31], off
	global_load_dword v27, v[28:29], off
.LBB19_11:                              ;   in Loop: Header=BB19_9 Depth=1
	s_or_b64 exec, exec, s[2:3]
	v_lshl_add_u64 v[28:29], v[18:19], 0, s[18:19]
	v_cmp_gt_u64_e64 s[2:3], s[14:15], v[28:29]
	v_mov_b32_e32 v25, 0
	v_mov_b32_e32 v29, 0
	;; [unrolled: 1-line block ×3, first 2 shown]
	s_and_saveexec_b64 s[4:5], s[2:3]
	s_cbranch_execz .LBB19_13
; %bb.12:                               ;   in Loop: Header=BB19_9 Depth=1
	v_lshl_add_u64 v[32:33], v[20:21], 0, s[10:11]
	v_lshl_add_u64 v[30:31], v[22:23], 0, s[10:11]
	global_load_dword v28, v[32:33], off
	global_load_dword v29, v[30:31], off
.LBB19_13:                              ;   in Loop: Header=BB19_9 Depth=1
	s_or_b64 exec, exec, s[4:5]
	v_lshl_add_u64 v[30:31], v[16:17], 0, s[18:19]
	v_cmp_gt_u64_e64 s[4:5], s[14:15], v[30:31]
	v_mov_b32_e32 v30, 0
	s_and_saveexec_b64 s[6:7], s[4:5]
	s_cbranch_execz .LBB19_15
; %bb.14:                               ;   in Loop: Header=BB19_9 Depth=1
	v_lshl_add_u64 v[34:35], v[12:13], 0, s[10:11]
	v_lshl_add_u64 v[32:33], v[14:15], 0, s[10:11]
	global_load_dword v30, v[34:35], off
	global_load_dword v25, v[32:33], off
.LBB19_15:                              ;   in Loop: Header=BB19_9 Depth=1
	s_or_b64 exec, exec, s[6:7]
	v_lshl_add_u64 v[32:33], v[10:11], 0, s[18:19]
	v_cmp_gt_u64_e64 s[6:7], s[14:15], v[32:33]
	v_mov_b32_e32 v31, 0
	v_mov_b32_e32 v32, 0
	s_and_saveexec_b64 s[20:21], s[6:7]
	s_cbranch_execnz .LBB19_20
; %bb.16:                               ;   in Loop: Header=BB19_9 Depth=1
	s_or_b64 exec, exec, s[20:21]
	s_and_saveexec_b64 s[20:21], vcc
	s_cbranch_execnz .LBB19_21
.LBB19_17:                              ;   in Loop: Header=BB19_9 Depth=1
	s_or_b64 exec, exec, s[20:21]
	s_and_saveexec_b64 s[20:21], s[2:3]
	s_cbranch_execnz .LBB19_22
.LBB19_18:                              ;   in Loop: Header=BB19_9 Depth=1
	s_or_b64 exec, exec, s[20:21]
	s_and_saveexec_b64 s[2:3], s[4:5]
	s_cbranch_execnz .LBB19_23
.LBB19_19:                              ;   in Loop: Header=BB19_9 Depth=1
	s_or_b64 exec, exec, s[2:3]
	s_and_saveexec_b64 s[2:3], s[6:7]
	s_cbranch_execz .LBB19_8
	s_branch .LBB19_24
.LBB19_20:                              ;   in Loop: Header=BB19_9 Depth=1
	v_lshl_add_u64 v[36:37], v[6:7], 0, s[10:11]
	v_lshl_add_u64 v[34:35], v[8:9], 0, s[10:11]
	global_load_dword v32, v[36:37], off
	global_load_dword v31, v[34:35], off
	s_or_b64 exec, exec, s[20:21]
	s_and_saveexec_b64 s[20:21], vcc
	s_cbranch_execz .LBB19_17
.LBB19_21:                              ;   in Loop: Header=BB19_9 Depth=1
	s_waitcnt vmcnt(0)
	v_sub_f32_e32 v33, v27, v26
	v_fmac_f32_e32 v26, s8, v33
	v_fma_f32 v27, -v24, v33, v27
	v_lshl_add_u64 v[34:35], v[2:3], 0, s[10:11]
	v_cndmask_b32_e64 v26, v27, v26, s[0:1]
	global_store_dword v[34:35], v26, off
	s_or_b64 exec, exec, s[20:21]
	s_and_saveexec_b64 s[20:21], s[2:3]
	s_cbranch_execz .LBB19_18
.LBB19_22:                              ;   in Loop: Header=BB19_9 Depth=1
	s_waitcnt vmcnt(0)
	v_sub_f32_e32 v26, v29, v28
	v_fmac_f32_e32 v28, s8, v26
	v_fma_f32 v26, -v24, v26, v29
	v_cndmask_b32_e64 v28, v26, v28, s[0:1]
	v_lshl_add_u64 v[26:27], v[20:21], 0, s[10:11]
	global_store_dword v[26:27], v28, off
	s_or_b64 exec, exec, s[20:21]
	s_and_saveexec_b64 s[2:3], s[4:5]
	s_cbranch_execz .LBB19_19
.LBB19_23:                              ;   in Loop: Header=BB19_9 Depth=1
	s_waitcnt vmcnt(0)
	v_sub_f32_e32 v26, v25, v30
	v_fmac_f32_e32 v30, s8, v26
	v_fma_f32 v25, -v24, v26, v25
	v_cndmask_b32_e64 v25, v25, v30, s[0:1]
	v_lshl_add_u64 v[26:27], v[12:13], 0, s[10:11]
	global_store_dword v[26:27], v25, off
	s_or_b64 exec, exec, s[2:3]
	s_and_saveexec_b64 s[2:3], s[6:7]
	s_cbranch_execz .LBB19_8
.LBB19_24:                              ;   in Loop: Header=BB19_9 Depth=1
	s_waitcnt vmcnt(0)
	v_sub_f32_e32 v25, v31, v32
	v_fmac_f32_e32 v32, s8, v25
	v_fma_f32 v25, -v24, v25, v31
	v_cndmask_b32_e64 v25, v25, v32, s[0:1]
	v_lshl_add_u64 v[26:27], v[6:7], 0, s[10:11]
	global_store_dword v[26:27], v25, off
	s_branch .LBB19_8
.LBB19_25:
	s_endpgm
	.section	.rodata,"a",@progbits
	.p2align	6, 0x0
	.amdhsa_kernel _ZN2at6native12_GLOBAL__N_125multi_tensor_apply_kernelINS1_18TensorListMetadataILi2EEENS1_22TernaryOpScalarFunctorIfLi2ELi2ELi0EEEJNS0_11LerpFunctorIfEEfEEEvT_T0_DpT1_
		.amdhsa_group_segment_fixed_size 0
		.amdhsa_private_segment_fixed_size 0
		.amdhsa_kernarg_size 3408
		.amdhsa_user_sgpr_count 2
		.amdhsa_user_sgpr_dispatch_ptr 0
		.amdhsa_user_sgpr_queue_ptr 0
		.amdhsa_user_sgpr_kernarg_segment_ptr 1
		.amdhsa_user_sgpr_dispatch_id 0
		.amdhsa_user_sgpr_kernarg_preload_length 0
		.amdhsa_user_sgpr_kernarg_preload_offset 0
		.amdhsa_user_sgpr_private_segment_size 0
		.amdhsa_uses_dynamic_stack 0
		.amdhsa_enable_private_segment 0
		.amdhsa_system_sgpr_workgroup_id_x 1
		.amdhsa_system_sgpr_workgroup_id_y 0
		.amdhsa_system_sgpr_workgroup_id_z 0
		.amdhsa_system_sgpr_workgroup_info 0
		.amdhsa_system_vgpr_workitem_id 0
		.amdhsa_next_free_vgpr 38
		.amdhsa_next_free_sgpr 26
		.amdhsa_accum_offset 40
		.amdhsa_reserve_vcc 1
		.amdhsa_float_round_mode_32 0
		.amdhsa_float_round_mode_16_64 0
		.amdhsa_float_denorm_mode_32 3
		.amdhsa_float_denorm_mode_16_64 3
		.amdhsa_dx10_clamp 1
		.amdhsa_ieee_mode 1
		.amdhsa_fp16_overflow 0
		.amdhsa_tg_split 0
		.amdhsa_exception_fp_ieee_invalid_op 0
		.amdhsa_exception_fp_denorm_src 0
		.amdhsa_exception_fp_ieee_div_zero 0
		.amdhsa_exception_fp_ieee_overflow 0
		.amdhsa_exception_fp_ieee_underflow 0
		.amdhsa_exception_fp_ieee_inexact 0
		.amdhsa_exception_int_div_zero 0
	.end_amdhsa_kernel
	.section	.text._ZN2at6native12_GLOBAL__N_125multi_tensor_apply_kernelINS1_18TensorListMetadataILi2EEENS1_22TernaryOpScalarFunctorIfLi2ELi2ELi0EEEJNS0_11LerpFunctorIfEEfEEEvT_T0_DpT1_,"axG",@progbits,_ZN2at6native12_GLOBAL__N_125multi_tensor_apply_kernelINS1_18TensorListMetadataILi2EEENS1_22TernaryOpScalarFunctorIfLi2ELi2ELi0EEEJNS0_11LerpFunctorIfEEfEEEvT_T0_DpT1_,comdat
.Lfunc_end19:
	.size	_ZN2at6native12_GLOBAL__N_125multi_tensor_apply_kernelINS1_18TensorListMetadataILi2EEENS1_22TernaryOpScalarFunctorIfLi2ELi2ELi0EEEJNS0_11LerpFunctorIfEEfEEEvT_T0_DpT1_, .Lfunc_end19-_ZN2at6native12_GLOBAL__N_125multi_tensor_apply_kernelINS1_18TensorListMetadataILi2EEENS1_22TernaryOpScalarFunctorIfLi2ELi2ELi0EEEJNS0_11LerpFunctorIfEEfEEEvT_T0_DpT1_
                                        ; -- End function
	.set _ZN2at6native12_GLOBAL__N_125multi_tensor_apply_kernelINS1_18TensorListMetadataILi2EEENS1_22TernaryOpScalarFunctorIfLi2ELi2ELi0EEEJNS0_11LerpFunctorIfEEfEEEvT_T0_DpT1_.num_vgpr, 38
	.set _ZN2at6native12_GLOBAL__N_125multi_tensor_apply_kernelINS1_18TensorListMetadataILi2EEENS1_22TernaryOpScalarFunctorIfLi2ELi2ELi0EEEJNS0_11LerpFunctorIfEEfEEEvT_T0_DpT1_.num_agpr, 0
	.set _ZN2at6native12_GLOBAL__N_125multi_tensor_apply_kernelINS1_18TensorListMetadataILi2EEENS1_22TernaryOpScalarFunctorIfLi2ELi2ELi0EEEJNS0_11LerpFunctorIfEEfEEEvT_T0_DpT1_.numbered_sgpr, 26
	.set _ZN2at6native12_GLOBAL__N_125multi_tensor_apply_kernelINS1_18TensorListMetadataILi2EEENS1_22TernaryOpScalarFunctorIfLi2ELi2ELi0EEEJNS0_11LerpFunctorIfEEfEEEvT_T0_DpT1_.num_named_barrier, 0
	.set _ZN2at6native12_GLOBAL__N_125multi_tensor_apply_kernelINS1_18TensorListMetadataILi2EEENS1_22TernaryOpScalarFunctorIfLi2ELi2ELi0EEEJNS0_11LerpFunctorIfEEfEEEvT_T0_DpT1_.private_seg_size, 0
	.set _ZN2at6native12_GLOBAL__N_125multi_tensor_apply_kernelINS1_18TensorListMetadataILi2EEENS1_22TernaryOpScalarFunctorIfLi2ELi2ELi0EEEJNS0_11LerpFunctorIfEEfEEEvT_T0_DpT1_.uses_vcc, 1
	.set _ZN2at6native12_GLOBAL__N_125multi_tensor_apply_kernelINS1_18TensorListMetadataILi2EEENS1_22TernaryOpScalarFunctorIfLi2ELi2ELi0EEEJNS0_11LerpFunctorIfEEfEEEvT_T0_DpT1_.uses_flat_scratch, 0
	.set _ZN2at6native12_GLOBAL__N_125multi_tensor_apply_kernelINS1_18TensorListMetadataILi2EEENS1_22TernaryOpScalarFunctorIfLi2ELi2ELi0EEEJNS0_11LerpFunctorIfEEfEEEvT_T0_DpT1_.has_dyn_sized_stack, 0
	.set _ZN2at6native12_GLOBAL__N_125multi_tensor_apply_kernelINS1_18TensorListMetadataILi2EEENS1_22TernaryOpScalarFunctorIfLi2ELi2ELi0EEEJNS0_11LerpFunctorIfEEfEEEvT_T0_DpT1_.has_recursion, 0
	.set _ZN2at6native12_GLOBAL__N_125multi_tensor_apply_kernelINS1_18TensorListMetadataILi2EEENS1_22TernaryOpScalarFunctorIfLi2ELi2ELi0EEEJNS0_11LerpFunctorIfEEfEEEvT_T0_DpT1_.has_indirect_call, 0
	.section	.AMDGPU.csdata,"",@progbits
; Kernel info:
; codeLenInByte = 1376
; TotalNumSgprs: 32
; NumVgprs: 38
; NumAgprs: 0
; TotalNumVgprs: 38
; ScratchSize: 0
; MemoryBound: 0
; FloatMode: 240
; IeeeMode: 1
; LDSByteSize: 0 bytes/workgroup (compile time only)
; SGPRBlocks: 3
; VGPRBlocks: 4
; NumSGPRsForWavesPerEU: 32
; NumVGPRsForWavesPerEU: 38
; AccumOffset: 40
; Occupancy: 8
; WaveLimiterHint : 0
; COMPUTE_PGM_RSRC2:SCRATCH_EN: 0
; COMPUTE_PGM_RSRC2:USER_SGPR: 2
; COMPUTE_PGM_RSRC2:TRAP_HANDLER: 0
; COMPUTE_PGM_RSRC2:TGID_X_EN: 1
; COMPUTE_PGM_RSRC2:TGID_Y_EN: 0
; COMPUTE_PGM_RSRC2:TGID_Z_EN: 0
; COMPUTE_PGM_RSRC2:TIDIG_COMP_CNT: 0
; COMPUTE_PGM_RSRC3_GFX90A:ACCUM_OFFSET: 9
; COMPUTE_PGM_RSRC3_GFX90A:TG_SPLIT: 0
	.section	.text._ZN2at6native12_GLOBAL__N_125multi_tensor_apply_kernelINS1_18TensorListMetadataILi2EEENS1_22TernaryOpScalarFunctorIN3c107complexIdEELi2ELi2ELi0EEEJNS0_11LerpFunctorIS8_EES8_EEEvT_T0_DpT1_,"axG",@progbits,_ZN2at6native12_GLOBAL__N_125multi_tensor_apply_kernelINS1_18TensorListMetadataILi2EEENS1_22TernaryOpScalarFunctorIN3c107complexIdEELi2ELi2ELi0EEEJNS0_11LerpFunctorIS8_EES8_EEEvT_T0_DpT1_,comdat
	.globl	_ZN2at6native12_GLOBAL__N_125multi_tensor_apply_kernelINS1_18TensorListMetadataILi2EEENS1_22TernaryOpScalarFunctorIN3c107complexIdEELi2ELi2ELi0EEEJNS0_11LerpFunctorIS8_EES8_EEEvT_T0_DpT1_ ; -- Begin function _ZN2at6native12_GLOBAL__N_125multi_tensor_apply_kernelINS1_18TensorListMetadataILi2EEENS1_22TernaryOpScalarFunctorIN3c107complexIdEELi2ELi2ELi0EEEJNS0_11LerpFunctorIS8_EES8_EEEvT_T0_DpT1_
	.p2align	8
	.type	_ZN2at6native12_GLOBAL__N_125multi_tensor_apply_kernelINS1_18TensorListMetadataILi2EEENS1_22TernaryOpScalarFunctorIN3c107complexIdEELi2ELi2ELi0EEEJNS0_11LerpFunctorIS8_EES8_EEEvT_T0_DpT1_,@function
_ZN2at6native12_GLOBAL__N_125multi_tensor_apply_kernelINS1_18TensorListMetadataILi2EEENS1_22TernaryOpScalarFunctorIN3c107complexIdEELi2ELi2ELi0EEEJNS0_11LerpFunctorIS8_EES8_EEEvT_T0_DpT1_: ; @_ZN2at6native12_GLOBAL__N_125multi_tensor_apply_kernelINS1_18TensorListMetadataILi2EEENS1_22TernaryOpScalarFunctorIN3c107complexIdEELi2ELi2ELi0EEEJNS0_11LerpFunctorIS8_EES8_EEEvT_T0_DpT1_
; %bb.0:
	v_mov_b32_e32 v1, s2
	global_load_ubyte v1, v1, s[0:1] offset:1536
	s_add_u32 s4, s0, s2
	s_mul_hi_u32 s5, s2, 3
	s_mul_i32 s2, s2, 3
	s_addc_u32 s6, s1, 0
	s_add_u32 s4, s4, s2
	s_addc_u32 s5, s6, s5
	s_load_dwordx4 s[12:15], s[0:1], 0xc50
	s_load_dword s6, s[4:5], 0x740
	s_mov_b32 s3, 0
	s_mov_b32 s5, s3
	s_waitcnt lgkmcnt(0)
	s_ashr_i32 s7, s6, 31
	s_lshl_b64 s[20:21], s[6:7], 20
	s_waitcnt vmcnt(0)
	v_readfirstlane_b32 s2, v1
	s_lshl_b32 s2, s2, 3
	s_load_dwordx2 s[8:9], s[0:1], s2 offset:0x0
	s_load_dwordx2 s[10:11], s[0:1], s2 offset:0x400
	;; [unrolled: 1-line block ×3, first 2 shown]
	s_waitcnt lgkmcnt(0)
	s_add_u32 s16, s8, s20
	s_addc_u32 s17, s9, s21
	s_and_b32 s2, s16, 63
	s_add_u32 s18, s18, s20
	s_addc_u32 s19, s19, s21
	s_lshl_b64 s[6:7], s[6:7], 16
	s_and_b32 s4, s18, 63
	s_sub_u32 s6, s10, s6
	s_subb_u32 s7, s11, s7
	s_and_b32 s8, s10, 3
	s_mov_b32 s9, s3
	s_or_b64 s[4:5], s[4:5], s[8:9]
	s_or_b64 s[2:3], s[4:5], s[2:3]
	s_cmp_eq_u64 s[2:3], 0
	s_mov_b64 s[2:3], -1
	s_cbranch_scc0 .LBB20_21
; %bb.1:
	v_mov_b64_e32 v[2:3], 0x10000
	v_cmp_lt_i64_e32 vcc, s[6:7], v[2:3]
	s_and_b64 s[2:3], vcc, exec
	v_mov_b32_e32 v39, 0
	s_cselect_b32 s9, s7, 0
	s_cselect_b32 s8, s6, 0x10000
	v_lshlrev_b32_e32 v38, 2, v0
	v_cmp_gt_i64_e32 vcc, s[8:9], v[38:39]
	s_and_saveexec_b64 s[10:11], vcc
	s_cbranch_execz .LBB20_20
; %bb.2:
	s_load_dword s4, s[0:1], 0xc6c
	v_mul_f64 v[2:3], s[14:15], s[14:15]
	s_mov_b32 s2, 0
	v_mov_b32_e32 v1, v39
	v_fmac_f64_e64 v[2:3], s[12:13], s[12:13]
	s_mov_b32 s3, 0x3fd00000
	s_waitcnt lgkmcnt(0)
	s_and_b32 s22, s4, 0xffff
	v_cmp_ngt_f64_e64 s[2:3], s[2:3], v[2:3]
	v_add_f64 v[40:41], -s[12:13], 1.0
	s_mov_b64 s[20:21], 0
	v_add_f64 v[42:43], -s[14:15], 0
	s_mov_b32 s23, 0
	v_lshlrev_b32_e32 v38, 6, v0
	s_lshl_b32 s30, s22, 6
	s_mov_b64 s[24:25], s[16:17]
	s_mov_b64 s[26:27], s[18:19]
	v_mov_b64_e32 v[44:45], v[0:1]
	s_branch .LBB20_4
.LBB20_3:                               ;   in Loop: Header=BB20_4 Depth=1
	s_add_u32 s26, s26, s30
	v_lshl_add_u64 v[44:45], v[44:45], 0, s[22:23]
	s_addc_u32 s27, s27, 0
	v_lshlrev_b64 v[2:3], 2, v[44:45]
	s_add_u32 s24, s24, s30
	s_addc_u32 s25, s25, 0
	v_cmp_le_i64_e32 vcc, s[8:9], v[2:3]
	s_or_b64 s[20:21], vcc, s[20:21]
	global_store_dwordx4 v[46:47], v[6:9], off
	global_store_dwordx4 v[46:47], v[18:21], off offset:16
	global_store_dwordx4 v[46:47], v[26:29], off offset:32
	;; [unrolled: 1-line block ×3, first 2 shown]
	s_andn2_b64 exec, exec, s[20:21]
	s_cbranch_execz .LBB20_20
.LBB20_4:                               ; =>This Inner Loop Header: Depth=1
	v_lshl_add_u64 v[46:47], s[24:25], 0, v[38:39]
	global_load_dwordx4 v[26:29], v[46:47], off offset:16
	global_load_dwordx4 v[18:21], v[46:47], off
	v_lshl_add_u64 v[6:7], s[26:27], 0, v[38:39]
	global_load_dwordx4 v[30:33], v[6:7], off offset:16
	global_load_dwordx4 v[34:37], v[6:7], off
	global_load_dwordx4 v[2:5], v[46:47], off offset:48
	global_load_dwordx4 v[14:17], v[46:47], off offset:32
	;; [unrolled: 1-line block ×4, first 2 shown]
	s_mov_b64 s[4:5], -1
	s_and_b64 vcc, exec, s[2:3]
                                        ; implicit-def: $vgpr8_vgpr9
	s_waitcnt vmcnt(4)
	v_add_f64 v[48:49], v[34:35], -v[18:19]
	v_add_f64 v[50:51], v[36:37], -v[20:21]
	s_cbranch_vccz .LBB20_6
; %bb.5:                                ;   in Loop: Header=BB20_4 Depth=1
	v_mul_f64 v[6:7], v[42:43], v[50:51]
	v_mul_f64 v[8:9], v[40:41], v[50:51]
	v_fma_f64 v[6:7], v[40:41], v[48:49], -v[6:7]
	v_fmac_f64_e32 v[8:9], v[42:43], v[48:49]
	v_add_f64 v[6:7], v[34:35], -v[6:7]
	v_add_f64 v[8:9], v[36:37], -v[8:9]
	s_mov_b64 s[4:5], 0
.LBB20_6:                               ;   in Loop: Header=BB20_4 Depth=1
	s_andn2_b64 vcc, exec, s[4:5]
	s_cbranch_vccnz .LBB20_8
; %bb.7:                                ;   in Loop: Header=BB20_4 Depth=1
	v_mul_f64 v[6:7], s[14:15], v[50:51]
	v_mul_f64 v[8:9], s[12:13], v[50:51]
	v_fma_f64 v[6:7], s[12:13], v[48:49], -v[6:7]
	v_fmac_f64_e32 v[8:9], s[14:15], v[48:49]
	v_add_f64 v[6:7], v[18:19], v[6:7]
	v_add_f64 v[8:9], v[20:21], v[8:9]
.LBB20_8:                               ;   in Loop: Header=BB20_4 Depth=1
	v_cndmask_b32_e64 v1, 0, 1, s[2:3]
	v_add_f64 v[34:35], v[30:31], -v[26:27]
	v_add_f64 v[36:37], v[32:33], -v[28:29]
	v_cmp_ne_u32_e64 s[4:5], 1, v1
	s_andn2_b64 vcc, exec, s[2:3]
	s_mov_b64 s[28:29], -1
                                        ; implicit-def: $vgpr20_vgpr21
	s_cbranch_vccnz .LBB20_10
; %bb.9:                                ;   in Loop: Header=BB20_4 Depth=1
	v_mul_f64 v[18:19], v[42:43], v[36:37]
	v_mul_f64 v[20:21], v[40:41], v[36:37]
	v_fma_f64 v[18:19], v[40:41], v[34:35], -v[18:19]
	v_fmac_f64_e32 v[20:21], v[42:43], v[34:35]
	v_add_f64 v[18:19], v[30:31], -v[18:19]
	v_add_f64 v[20:21], v[32:33], -v[20:21]
	s_mov_b64 s[28:29], 0
.LBB20_10:                              ;   in Loop: Header=BB20_4 Depth=1
	s_andn2_b64 vcc, exec, s[28:29]
	s_cbranch_vccnz .LBB20_12
; %bb.11:                               ;   in Loop: Header=BB20_4 Depth=1
	v_mul_f64 v[18:19], s[14:15], v[36:37]
	v_mul_f64 v[20:21], s[12:13], v[36:37]
	v_fma_f64 v[18:19], s[12:13], v[34:35], -v[18:19]
	v_fmac_f64_e32 v[20:21], s[14:15], v[34:35]
	v_add_f64 v[18:19], v[26:27], v[18:19]
	v_add_f64 v[20:21], v[28:29], v[20:21]
.LBB20_12:                              ;   in Loop: Header=BB20_4 Depth=1
	s_waitcnt vmcnt(0)
	v_add_f64 v[30:31], v[22:23], -v[14:15]
	v_add_f64 v[32:33], v[24:25], -v[16:17]
	s_and_b64 vcc, exec, s[4:5]
	s_mov_b64 s[28:29], -1
                                        ; implicit-def: $vgpr28_vgpr29
	s_cbranch_vccnz .LBB20_14
; %bb.13:                               ;   in Loop: Header=BB20_4 Depth=1
	v_mul_f64 v[26:27], v[42:43], v[32:33]
	v_mul_f64 v[28:29], v[40:41], v[32:33]
	v_fma_f64 v[26:27], v[40:41], v[30:31], -v[26:27]
	v_fmac_f64_e32 v[28:29], v[42:43], v[30:31]
	v_add_f64 v[26:27], v[22:23], -v[26:27]
	v_add_f64 v[28:29], v[24:25], -v[28:29]
	s_mov_b64 s[28:29], 0
.LBB20_14:                              ;   in Loop: Header=BB20_4 Depth=1
	s_andn2_b64 vcc, exec, s[28:29]
	s_cbranch_vccnz .LBB20_16
; %bb.15:                               ;   in Loop: Header=BB20_4 Depth=1
	v_mul_f64 v[22:23], s[14:15], v[32:33]
	v_mul_f64 v[24:25], s[12:13], v[32:33]
	v_fma_f64 v[22:23], s[12:13], v[30:31], -v[22:23]
	v_fmac_f64_e32 v[24:25], s[14:15], v[30:31]
	v_add_f64 v[26:27], v[14:15], v[22:23]
	v_add_f64 v[28:29], v[16:17], v[24:25]
.LBB20_16:                              ;   in Loop: Header=BB20_4 Depth=1
	v_add_f64 v[22:23], v[10:11], -v[2:3]
	v_add_f64 v[24:25], v[12:13], -v[4:5]
	s_and_b64 vcc, exec, s[4:5]
	s_mov_b64 s[4:5], -1
                                        ; implicit-def: $vgpr16_vgpr17
	s_cbranch_vccnz .LBB20_18
; %bb.17:                               ;   in Loop: Header=BB20_4 Depth=1
	v_mul_f64 v[14:15], v[42:43], v[24:25]
	v_mul_f64 v[16:17], v[40:41], v[24:25]
	v_fma_f64 v[14:15], v[40:41], v[22:23], -v[14:15]
	v_fmac_f64_e32 v[16:17], v[42:43], v[22:23]
	v_add_f64 v[14:15], v[10:11], -v[14:15]
	v_add_f64 v[16:17], v[12:13], -v[16:17]
	s_mov_b64 s[4:5], 0
.LBB20_18:                              ;   in Loop: Header=BB20_4 Depth=1
	s_andn2_b64 vcc, exec, s[4:5]
	s_cbranch_vccnz .LBB20_3
; %bb.19:                               ;   in Loop: Header=BB20_4 Depth=1
	v_mul_f64 v[10:11], s[14:15], v[24:25]
	v_mul_f64 v[12:13], s[12:13], v[24:25]
	v_fma_f64 v[10:11], s[12:13], v[22:23], -v[10:11]
	v_fmac_f64_e32 v[12:13], s[14:15], v[22:23]
	v_add_f64 v[14:15], v[2:3], v[10:11]
	v_add_f64 v[16:17], v[4:5], v[12:13]
	s_branch .LBB20_3
.LBB20_20:
	s_or_b64 exec, exec, s[10:11]
	s_mov_b64 s[2:3], 0
.LBB20_21:
	s_andn2_b64 vcc, exec, s[2:3]
	s_cbranch_vccnz .LBB20_57
; %bb.22:
	v_cmp_lt_i64_e64 s[2:3], s[6:7], 1
	s_and_b64 vcc, exec, s[2:3]
	s_cbranch_vccnz .LBB20_57
; %bb.23:
	s_load_dword s2, s[0:1], 0xc6c
	v_mov_b64_e32 v[2:3], 0x10000
	v_cmp_lt_i64_e32 vcc, s[6:7], v[2:3]
	s_and_b64 s[0:1], vcc, exec
	s_cselect_b32 s23, s7, 0
	s_cselect_b32 s22, s6, 0x10000
	s_waitcnt lgkmcnt(0)
	s_and_b32 s20, s2, 0xffff
	v_cmp_lt_u64_e32 vcc, s[6:7], v[2:3]
	s_and_b64 s[0:1], vcc, exec
	v_mul_f64 v[2:3], s[14:15], s[14:15]
	s_mov_b32 s0, 0
	s_mov_b32 s21, 0
	v_fmac_f64_e64 v[2:3], s[12:13], s[12:13]
	s_mov_b32 s1, 0x3fd00000
	v_mov_b32_e32 v1, 0
	s_cselect_b32 s25, s7, 0
	s_cselect_b32 s24, s6, 0x10000
	s_lshl_b32 s26, s20, 1
	s_mov_b32 s27, s21
	s_mul_i32 s28, s20, 3
	s_mov_b32 s29, s21
	v_cmp_ngt_f64_e64 s[0:1], s[0:1], v[2:3]
	v_add_f64 v[38:39], -s[12:13], 1.0
	s_mov_b64 s[30:31], 0
	v_add_f64 v[40:41], -s[14:15], 0
	s_lshl_b32 s33, s20, 2
	s_branch .LBB20_25
.LBB20_24:                              ;   in Loop: Header=BB20_25 Depth=1
	s_or_b64 exec, exec, s[2:3]
	s_add_u32 s30, s30, s33
	s_addc_u32 s31, s31, 0
	v_mov_b64_e32 v[2:3], s[22:23]
	v_cmp_ge_i64_e32 vcc, s[30:31], v[2:3]
	s_cbranch_vccnz .LBB20_57
.LBB20_25:                              ; =>This Inner Loop Header: Depth=1
	v_lshl_add_u64 v[42:43], s[30:31], 0, v[0:1]
	v_cmp_gt_u64_e64 s[2:3], s[24:25], v[42:43]
	v_mov_b64_e32 v[8:9], 0
	v_mov_b64_e32 v[36:37], 0
	;; [unrolled: 1-line block ×5, first 2 shown]
	s_and_saveexec_b64 s[4:5], s[2:3]
	s_cbranch_execz .LBB20_27
; %bb.26:                               ;   in Loop: Header=BB20_25 Depth=1
	v_lshlrev_b64 v[2:3], 4, v[42:43]
	v_lshl_add_u64 v[4:5], s[18:19], 0, v[2:3]
	v_lshl_add_u64 v[2:3], s[16:17], 0, v[2:3]
	global_load_dwordx4 v[22:25], v[2:3], off
	global_load_dwordx4 v[34:37], v[4:5], off
.LBB20_27:                              ;   in Loop: Header=BB20_25 Depth=1
	s_or_b64 exec, exec, s[4:5]
	v_lshl_add_u64 v[44:45], v[42:43], 0, s[20:21]
	v_cmp_gt_u64_e64 s[4:5], s[24:25], v[44:45]
	v_mov_b64_e32 v[6:7], 0
	v_mov_b64_e32 v[20:21], 0
	;; [unrolled: 1-line block ×3, first 2 shown]
	s_and_saveexec_b64 s[6:7], s[4:5]
	s_cbranch_execz .LBB20_29
; %bb.28:                               ;   in Loop: Header=BB20_25 Depth=1
	v_lshlrev_b64 v[2:3], 4, v[44:45]
	v_lshl_add_u64 v[4:5], s[18:19], 0, v[2:3]
	v_lshl_add_u64 v[2:3], s[16:17], 0, v[2:3]
	global_load_dwordx4 v[18:21], v[2:3], off
	global_load_dwordx4 v[6:9], v[4:5], off
.LBB20_29:                              ;   in Loop: Header=BB20_25 Depth=1
	s_or_b64 exec, exec, s[6:7]
	v_lshl_add_u64 v[46:47], v[42:43], 0, s[26:27]
	v_cmp_gt_u64_e64 s[6:7], s[24:25], v[46:47]
	v_mov_b64_e32 v[4:5], 0
	v_mov_b64_e32 v[32:33], 0
	;; [unrolled: 1-line block ×5, first 2 shown]
	s_and_saveexec_b64 s[8:9], s[6:7]
	s_cbranch_execz .LBB20_31
; %bb.30:                               ;   in Loop: Header=BB20_25 Depth=1
	v_lshlrev_b64 v[2:3], 4, v[46:47]
	v_lshl_add_u64 v[10:11], s[18:19], 0, v[2:3]
	v_lshl_add_u64 v[2:3], s[16:17], 0, v[2:3]
	global_load_dwordx4 v[14:17], v[2:3], off
	global_load_dwordx4 v[30:33], v[10:11], off
.LBB20_31:                              ;   in Loop: Header=BB20_25 Depth=1
	s_or_b64 exec, exec, s[8:9]
	v_lshl_add_u64 v[48:49], v[42:43], 0, s[28:29]
	v_cmp_gt_u64_e64 s[8:9], s[24:25], v[48:49]
	v_mov_b64_e32 v[2:3], 0
	v_mov_b64_e32 v[12:13], 0
	;; [unrolled: 1-line block ×3, first 2 shown]
	s_and_saveexec_b64 s[10:11], s[8:9]
	s_cbranch_execz .LBB20_33
; %bb.32:                               ;   in Loop: Header=BB20_25 Depth=1
	v_lshlrev_b64 v[2:3], 4, v[48:49]
	v_lshl_add_u64 v[28:29], s[16:17], 0, v[2:3]
	v_lshl_add_u64 v[26:27], s[18:19], 0, v[2:3]
	global_load_dwordx4 v[10:13], v[28:29], off
	global_load_dwordx4 v[2:5], v[26:27], off
.LBB20_33:                              ;   in Loop: Header=BB20_25 Depth=1
	s_or_b64 exec, exec, s[10:11]
	s_waitcnt vmcnt(0)
	v_add_f64 v[52:53], v[34:35], -v[22:23]
	v_add_f64 v[50:51], v[36:37], -v[24:25]
	s_mov_b64 s[10:11], -1
	s_and_b64 vcc, exec, s[0:1]
                                        ; implicit-def: $vgpr28_vgpr29
	s_cbranch_vccz .LBB20_35
; %bb.34:                               ;   in Loop: Header=BB20_25 Depth=1
	v_mul_f64 v[26:27], v[40:41], v[50:51]
	v_mul_f64 v[28:29], v[40:41], v[52:53]
	v_fma_f64 v[26:27], v[38:39], v[52:53], -v[26:27]
	v_fmac_f64_e32 v[28:29], v[38:39], v[50:51]
	v_add_f64 v[26:27], v[34:35], -v[26:27]
	v_add_f64 v[28:29], v[36:37], -v[28:29]
	s_mov_b64 s[10:11], 0
.LBB20_35:                              ;   in Loop: Header=BB20_25 Depth=1
	s_andn2_b64 vcc, exec, s[10:11]
	s_cbranch_vccnz .LBB20_37
; %bb.36:                               ;   in Loop: Header=BB20_25 Depth=1
	v_mul_f64 v[26:27], s[14:15], v[50:51]
	v_mul_f64 v[28:29], s[14:15], v[52:53]
	v_fma_f64 v[26:27], s[12:13], v[52:53], -v[26:27]
	v_fmac_f64_e32 v[28:29], s[12:13], v[50:51]
	v_add_f64 v[26:27], v[22:23], v[26:27]
	v_add_f64 v[28:29], v[24:25], v[28:29]
.LBB20_37:                              ;   in Loop: Header=BB20_25 Depth=1
	v_cndmask_b32_e64 v22, 0, 1, s[0:1]
	v_add_f64 v[36:37], v[6:7], -v[18:19]
	v_add_f64 v[34:35], v[8:9], -v[20:21]
	v_cmp_ne_u32_e64 s[10:11], 1, v22
	s_andn2_b64 vcc, exec, s[0:1]
	s_mov_b64 s[34:35], -1
                                        ; implicit-def: $vgpr24_vgpr25
	s_cbranch_vccnz .LBB20_39
; %bb.38:                               ;   in Loop: Header=BB20_25 Depth=1
	v_mul_f64 v[22:23], v[40:41], v[34:35]
	v_mul_f64 v[24:25], v[40:41], v[36:37]
	v_fma_f64 v[22:23], v[38:39], v[36:37], -v[22:23]
	v_fmac_f64_e32 v[24:25], v[38:39], v[34:35]
	v_add_f64 v[22:23], v[6:7], -v[22:23]
	v_add_f64 v[24:25], v[8:9], -v[24:25]
	s_mov_b64 s[34:35], 0
.LBB20_39:                              ;   in Loop: Header=BB20_25 Depth=1
	s_andn2_b64 vcc, exec, s[34:35]
	s_cbranch_vccnz .LBB20_41
; %bb.40:                               ;   in Loop: Header=BB20_25 Depth=1
	v_mul_f64 v[6:7], s[14:15], v[34:35]
	v_mul_f64 v[8:9], s[14:15], v[36:37]
	v_fma_f64 v[6:7], s[12:13], v[36:37], -v[6:7]
	v_fmac_f64_e32 v[8:9], s[12:13], v[34:35]
	v_add_f64 v[22:23], v[18:19], v[6:7]
	v_add_f64 v[24:25], v[20:21], v[8:9]
.LBB20_41:                              ;   in Loop: Header=BB20_25 Depth=1
	v_add_f64 v[20:21], v[30:31], -v[14:15]
	v_add_f64 v[18:19], v[32:33], -v[16:17]
	s_and_b64 vcc, exec, s[10:11]
	s_mov_b64 s[34:35], -1
                                        ; implicit-def: $vgpr8_vgpr9
	s_cbranch_vccnz .LBB20_43
; %bb.42:                               ;   in Loop: Header=BB20_25 Depth=1
	v_mul_f64 v[6:7], v[40:41], v[18:19]
	v_mul_f64 v[8:9], v[40:41], v[20:21]
	v_fma_f64 v[6:7], v[38:39], v[20:21], -v[6:7]
	v_fmac_f64_e32 v[8:9], v[38:39], v[18:19]
	v_add_f64 v[6:7], v[30:31], -v[6:7]
	v_add_f64 v[8:9], v[32:33], -v[8:9]
	s_mov_b64 s[34:35], 0
.LBB20_43:                              ;   in Loop: Header=BB20_25 Depth=1
	s_andn2_b64 vcc, exec, s[34:35]
	s_cbranch_vccnz .LBB20_45
; %bb.44:                               ;   in Loop: Header=BB20_25 Depth=1
	v_mul_f64 v[6:7], s[14:15], v[18:19]
	v_mul_f64 v[8:9], s[14:15], v[20:21]
	v_fma_f64 v[6:7], s[12:13], v[20:21], -v[6:7]
	v_fmac_f64_e32 v[8:9], s[12:13], v[18:19]
	v_add_f64 v[6:7], v[14:15], v[6:7]
	v_add_f64 v[8:9], v[16:17], v[8:9]
.LBB20_45:                              ;   in Loop: Header=BB20_25 Depth=1
	v_add_f64 v[20:21], v[2:3], -v[10:11]
	v_add_f64 v[18:19], v[4:5], -v[12:13]
	s_and_b64 vcc, exec, s[10:11]
	s_mov_b64 s[10:11], -1
                                        ; implicit-def: $vgpr16_vgpr17
	s_cbranch_vccz .LBB20_51
; %bb.46:                               ;   in Loop: Header=BB20_25 Depth=1
	s_andn2_b64 vcc, exec, s[10:11]
	s_cbranch_vccz .LBB20_52
.LBB20_47:                              ;   in Loop: Header=BB20_25 Depth=1
	s_and_saveexec_b64 s[10:11], s[2:3]
	s_xor_b64 s[2:3], exec, s[10:11]
	s_cbranch_execnz .LBB20_53
.LBB20_48:                              ;   in Loop: Header=BB20_25 Depth=1
	s_or_b64 exec, exec, s[2:3]
	s_and_saveexec_b64 s[2:3], s[4:5]
	s_cbranch_execnz .LBB20_54
.LBB20_49:                              ;   in Loop: Header=BB20_25 Depth=1
	s_or_b64 exec, exec, s[2:3]
	s_and_saveexec_b64 s[2:3], s[6:7]
	s_cbranch_execnz .LBB20_55
.LBB20_50:                              ;   in Loop: Header=BB20_25 Depth=1
	s_or_b64 exec, exec, s[2:3]
	s_and_saveexec_b64 s[2:3], s[8:9]
	s_cbranch_execz .LBB20_24
	s_branch .LBB20_56
.LBB20_51:                              ;   in Loop: Header=BB20_25 Depth=1
	v_mul_f64 v[14:15], v[40:41], v[18:19]
	v_mul_f64 v[16:17], v[40:41], v[20:21]
	v_fma_f64 v[14:15], v[38:39], v[20:21], -v[14:15]
	v_fmac_f64_e32 v[16:17], v[38:39], v[18:19]
	v_add_f64 v[14:15], v[2:3], -v[14:15]
	v_add_f64 v[16:17], v[4:5], -v[16:17]
	s_cbranch_execnz .LBB20_47
.LBB20_52:                              ;   in Loop: Header=BB20_25 Depth=1
	v_mul_f64 v[2:3], s[14:15], v[18:19]
	v_mul_f64 v[4:5], s[14:15], v[20:21]
	v_fma_f64 v[2:3], s[12:13], v[20:21], -v[2:3]
	v_fmac_f64_e32 v[4:5], s[12:13], v[18:19]
	v_add_f64 v[14:15], v[10:11], v[2:3]
	v_add_f64 v[16:17], v[12:13], v[4:5]
	s_and_saveexec_b64 s[10:11], s[2:3]
	s_xor_b64 s[2:3], exec, s[10:11]
	s_cbranch_execz .LBB20_48
.LBB20_53:                              ;   in Loop: Header=BB20_25 Depth=1
	v_lshl_add_u64 v[2:3], v[42:43], 4, s[16:17]
	global_store_dwordx4 v[2:3], v[26:29], off
	s_or_b64 exec, exec, s[2:3]
	s_and_saveexec_b64 s[2:3], s[4:5]
	s_cbranch_execz .LBB20_49
.LBB20_54:                              ;   in Loop: Header=BB20_25 Depth=1
	v_lshl_add_u64 v[2:3], v[44:45], 4, s[16:17]
	global_store_dwordx4 v[2:3], v[22:25], off
	s_or_b64 exec, exec, s[2:3]
	s_and_saveexec_b64 s[2:3], s[6:7]
	s_cbranch_execz .LBB20_50
.LBB20_55:                              ;   in Loop: Header=BB20_25 Depth=1
	v_lshl_add_u64 v[2:3], v[46:47], 4, s[16:17]
	global_store_dwordx4 v[2:3], v[6:9], off
	s_or_b64 exec, exec, s[2:3]
	s_and_saveexec_b64 s[2:3], s[8:9]
	s_cbranch_execz .LBB20_24
.LBB20_56:                              ;   in Loop: Header=BB20_25 Depth=1
	v_lshl_add_u64 v[2:3], v[48:49], 4, s[16:17]
	global_store_dwordx4 v[2:3], v[14:17], off
	s_branch .LBB20_24
.LBB20_57:
	s_endpgm
	.section	.rodata,"a",@progbits
	.p2align	6, 0x0
	.amdhsa_kernel _ZN2at6native12_GLOBAL__N_125multi_tensor_apply_kernelINS1_18TensorListMetadataILi2EEENS1_22TernaryOpScalarFunctorIN3c107complexIdEELi2ELi2ELi0EEEJNS0_11LerpFunctorIS8_EES8_EEEvT_T0_DpT1_
		.amdhsa_group_segment_fixed_size 0
		.amdhsa_private_segment_fixed_size 0
		.amdhsa_kernarg_size 3424
		.amdhsa_user_sgpr_count 2
		.amdhsa_user_sgpr_dispatch_ptr 0
		.amdhsa_user_sgpr_queue_ptr 0
		.amdhsa_user_sgpr_kernarg_segment_ptr 1
		.amdhsa_user_sgpr_dispatch_id 0
		.amdhsa_user_sgpr_kernarg_preload_length 0
		.amdhsa_user_sgpr_kernarg_preload_offset 0
		.amdhsa_user_sgpr_private_segment_size 0
		.amdhsa_uses_dynamic_stack 0
		.amdhsa_enable_private_segment 0
		.amdhsa_system_sgpr_workgroup_id_x 1
		.amdhsa_system_sgpr_workgroup_id_y 0
		.amdhsa_system_sgpr_workgroup_id_z 0
		.amdhsa_system_sgpr_workgroup_info 0
		.amdhsa_system_vgpr_workitem_id 0
		.amdhsa_next_free_vgpr 54
		.amdhsa_next_free_sgpr 36
		.amdhsa_accum_offset 56
		.amdhsa_reserve_vcc 1
		.amdhsa_float_round_mode_32 0
		.amdhsa_float_round_mode_16_64 0
		.amdhsa_float_denorm_mode_32 3
		.amdhsa_float_denorm_mode_16_64 3
		.amdhsa_dx10_clamp 1
		.amdhsa_ieee_mode 1
		.amdhsa_fp16_overflow 0
		.amdhsa_tg_split 0
		.amdhsa_exception_fp_ieee_invalid_op 0
		.amdhsa_exception_fp_denorm_src 0
		.amdhsa_exception_fp_ieee_div_zero 0
		.amdhsa_exception_fp_ieee_overflow 0
		.amdhsa_exception_fp_ieee_underflow 0
		.amdhsa_exception_fp_ieee_inexact 0
		.amdhsa_exception_int_div_zero 0
	.end_amdhsa_kernel
	.section	.text._ZN2at6native12_GLOBAL__N_125multi_tensor_apply_kernelINS1_18TensorListMetadataILi2EEENS1_22TernaryOpScalarFunctorIN3c107complexIdEELi2ELi2ELi0EEEJNS0_11LerpFunctorIS8_EES8_EEEvT_T0_DpT1_,"axG",@progbits,_ZN2at6native12_GLOBAL__N_125multi_tensor_apply_kernelINS1_18TensorListMetadataILi2EEENS1_22TernaryOpScalarFunctorIN3c107complexIdEELi2ELi2ELi0EEEJNS0_11LerpFunctorIS8_EES8_EEEvT_T0_DpT1_,comdat
.Lfunc_end20:
	.size	_ZN2at6native12_GLOBAL__N_125multi_tensor_apply_kernelINS1_18TensorListMetadataILi2EEENS1_22TernaryOpScalarFunctorIN3c107complexIdEELi2ELi2ELi0EEEJNS0_11LerpFunctorIS8_EES8_EEEvT_T0_DpT1_, .Lfunc_end20-_ZN2at6native12_GLOBAL__N_125multi_tensor_apply_kernelINS1_18TensorListMetadataILi2EEENS1_22TernaryOpScalarFunctorIN3c107complexIdEELi2ELi2ELi0EEEJNS0_11LerpFunctorIS8_EES8_EEEvT_T0_DpT1_
                                        ; -- End function
	.set _ZN2at6native12_GLOBAL__N_125multi_tensor_apply_kernelINS1_18TensorListMetadataILi2EEENS1_22TernaryOpScalarFunctorIN3c107complexIdEELi2ELi2ELi0EEEJNS0_11LerpFunctorIS8_EES8_EEEvT_T0_DpT1_.num_vgpr, 54
	.set _ZN2at6native12_GLOBAL__N_125multi_tensor_apply_kernelINS1_18TensorListMetadataILi2EEENS1_22TernaryOpScalarFunctorIN3c107complexIdEELi2ELi2ELi0EEEJNS0_11LerpFunctorIS8_EES8_EEEvT_T0_DpT1_.num_agpr, 0
	.set _ZN2at6native12_GLOBAL__N_125multi_tensor_apply_kernelINS1_18TensorListMetadataILi2EEENS1_22TernaryOpScalarFunctorIN3c107complexIdEELi2ELi2ELi0EEEJNS0_11LerpFunctorIS8_EES8_EEEvT_T0_DpT1_.numbered_sgpr, 36
	.set _ZN2at6native12_GLOBAL__N_125multi_tensor_apply_kernelINS1_18TensorListMetadataILi2EEENS1_22TernaryOpScalarFunctorIN3c107complexIdEELi2ELi2ELi0EEEJNS0_11LerpFunctorIS8_EES8_EEEvT_T0_DpT1_.num_named_barrier, 0
	.set _ZN2at6native12_GLOBAL__N_125multi_tensor_apply_kernelINS1_18TensorListMetadataILi2EEENS1_22TernaryOpScalarFunctorIN3c107complexIdEELi2ELi2ELi0EEEJNS0_11LerpFunctorIS8_EES8_EEEvT_T0_DpT1_.private_seg_size, 0
	.set _ZN2at6native12_GLOBAL__N_125multi_tensor_apply_kernelINS1_18TensorListMetadataILi2EEENS1_22TernaryOpScalarFunctorIN3c107complexIdEELi2ELi2ELi0EEEJNS0_11LerpFunctorIS8_EES8_EEEvT_T0_DpT1_.uses_vcc, 1
	.set _ZN2at6native12_GLOBAL__N_125multi_tensor_apply_kernelINS1_18TensorListMetadataILi2EEENS1_22TernaryOpScalarFunctorIN3c107complexIdEELi2ELi2ELi0EEEJNS0_11LerpFunctorIS8_EES8_EEEvT_T0_DpT1_.uses_flat_scratch, 0
	.set _ZN2at6native12_GLOBAL__N_125multi_tensor_apply_kernelINS1_18TensorListMetadataILi2EEENS1_22TernaryOpScalarFunctorIN3c107complexIdEELi2ELi2ELi0EEEJNS0_11LerpFunctorIS8_EES8_EEEvT_T0_DpT1_.has_dyn_sized_stack, 0
	.set _ZN2at6native12_GLOBAL__N_125multi_tensor_apply_kernelINS1_18TensorListMetadataILi2EEENS1_22TernaryOpScalarFunctorIN3c107complexIdEELi2ELi2ELi0EEEJNS0_11LerpFunctorIS8_EES8_EEEvT_T0_DpT1_.has_recursion, 0
	.set _ZN2at6native12_GLOBAL__N_125multi_tensor_apply_kernelINS1_18TensorListMetadataILi2EEENS1_22TernaryOpScalarFunctorIN3c107complexIdEELi2ELi2ELi0EEEJNS0_11LerpFunctorIS8_EES8_EEEvT_T0_DpT1_.has_indirect_call, 0
	.section	.AMDGPU.csdata,"",@progbits
; Kernel info:
; codeLenInByte = 2284
; TotalNumSgprs: 42
; NumVgprs: 54
; NumAgprs: 0
; TotalNumVgprs: 54
; ScratchSize: 0
; MemoryBound: 1
; FloatMode: 240
; IeeeMode: 1
; LDSByteSize: 0 bytes/workgroup (compile time only)
; SGPRBlocks: 5
; VGPRBlocks: 6
; NumSGPRsForWavesPerEU: 42
; NumVGPRsForWavesPerEU: 54
; AccumOffset: 56
; Occupancy: 8
; WaveLimiterHint : 0
; COMPUTE_PGM_RSRC2:SCRATCH_EN: 0
; COMPUTE_PGM_RSRC2:USER_SGPR: 2
; COMPUTE_PGM_RSRC2:TRAP_HANDLER: 0
; COMPUTE_PGM_RSRC2:TGID_X_EN: 1
; COMPUTE_PGM_RSRC2:TGID_Y_EN: 0
; COMPUTE_PGM_RSRC2:TGID_Z_EN: 0
; COMPUTE_PGM_RSRC2:TIDIG_COMP_CNT: 0
; COMPUTE_PGM_RSRC3_GFX90A:ACCUM_OFFSET: 13
; COMPUTE_PGM_RSRC3_GFX90A:TG_SPLIT: 0
	.section	.text._ZN2at6native12_GLOBAL__N_125multi_tensor_apply_kernelINS1_18TensorListMetadataILi2EEENS1_22TernaryOpScalarFunctorIN3c107complexIfEELi2ELi2ELi0EEEJNS0_11LerpFunctorIS8_EES8_EEEvT_T0_DpT1_,"axG",@progbits,_ZN2at6native12_GLOBAL__N_125multi_tensor_apply_kernelINS1_18TensorListMetadataILi2EEENS1_22TernaryOpScalarFunctorIN3c107complexIfEELi2ELi2ELi0EEEJNS0_11LerpFunctorIS8_EES8_EEEvT_T0_DpT1_,comdat
	.globl	_ZN2at6native12_GLOBAL__N_125multi_tensor_apply_kernelINS1_18TensorListMetadataILi2EEENS1_22TernaryOpScalarFunctorIN3c107complexIfEELi2ELi2ELi0EEEJNS0_11LerpFunctorIS8_EES8_EEEvT_T0_DpT1_ ; -- Begin function _ZN2at6native12_GLOBAL__N_125multi_tensor_apply_kernelINS1_18TensorListMetadataILi2EEENS1_22TernaryOpScalarFunctorIN3c107complexIfEELi2ELi2ELi0EEEJNS0_11LerpFunctorIS8_EES8_EEEvT_T0_DpT1_
	.p2align	8
	.type	_ZN2at6native12_GLOBAL__N_125multi_tensor_apply_kernelINS1_18TensorListMetadataILi2EEENS1_22TernaryOpScalarFunctorIN3c107complexIfEELi2ELi2ELi0EEEJNS0_11LerpFunctorIS8_EES8_EEEvT_T0_DpT1_,@function
_ZN2at6native12_GLOBAL__N_125multi_tensor_apply_kernelINS1_18TensorListMetadataILi2EEENS1_22TernaryOpScalarFunctorIN3c107complexIfEELi2ELi2ELi0EEEJNS0_11LerpFunctorIS8_EES8_EEEvT_T0_DpT1_: ; @_ZN2at6native12_GLOBAL__N_125multi_tensor_apply_kernelINS1_18TensorListMetadataILi2EEENS1_22TernaryOpScalarFunctorIN3c107complexIfEELi2ELi2ELi0EEEJNS0_11LerpFunctorIS8_EES8_EEEvT_T0_DpT1_
; %bb.0:
	v_mov_b32_e32 v1, s2
	global_load_ubyte v1, v1, s[0:1] offset:1536
	s_add_u32 s4, s0, s2
	s_mul_hi_u32 s7, s2, 3
	s_mul_i32 s2, s2, 3
	s_addc_u32 s8, s1, 0
	s_add_u32 s6, s4, s2
	s_addc_u32 s7, s8, s7
	s_load_dword s10, s[6:7], 0x740
	s_mov_b32 s3, 0
	s_mov_b32 s5, s3
	s_waitcnt lgkmcnt(0)
	s_ashr_i32 s11, s10, 31
	s_lshl_b64 s[14:15], s[10:11], 19
	s_lshl_b64 s[10:11], s[10:11], 16
	s_waitcnt vmcnt(0)
	v_readfirstlane_b32 s2, v1
	s_lshl_b32 s2, s2, 3
	s_load_dwordx2 s[12:13], s[0:1], 0xc50
	s_load_dwordx2 s[16:17], s[0:1], s2 offset:0x400
	s_load_dwordx2 s[6:7], s[0:1], s2 offset:0x0
	;; [unrolled: 1-line block ×3, first 2 shown]
	s_waitcnt lgkmcnt(0)
	s_add_u32 s2, s6, s14
	s_and_b32 s4, s8, 31
	s_and_b32 s2, s2, 31
	s_sub_u32 s10, s16, s10
	s_subb_u32 s11, s17, s11
	s_and_b32 s16, s16, 3
	s_mov_b32 s17, s3
	s_or_b64 s[4:5], s[4:5], s[16:17]
	s_or_b64 s[2:3], s[4:5], s[2:3]
	s_cmp_eq_u64 s[2:3], 0
	s_mov_b64 s[2:3], -1
	s_cbranch_scc0 .LBB21_21
; %bb.1:
	v_mov_b64_e32 v[4:5], 0x10000
	v_cmp_lt_i64_e32 vcc, s[10:11], v[4:5]
	s_and_b64 s[2:3], vcc, exec
	v_mov_b32_e32 v3, 0
	s_cselect_b32 s17, s11, 0
	s_cselect_b32 s16, s10, 0x10000
	v_lshlrev_b32_e32 v2, 2, v0
	v_cmp_gt_i64_e32 vcc, s[16:17], v[2:3]
	s_and_saveexec_b64 s[18:19], vcc
	s_cbranch_execz .LBB21_20
; %bb.2:
	s_load_dword s2, s[0:1], 0xc64
	v_pk_mul_f32 v[4:5], s[12:13], s[12:13]
	s_mov_b32 s3, 0x3e800000
	v_add_f32_e32 v4, v4, v5
	v_mov_b32_e32 v2, 1.0
	v_pk_add_f32 v[22:23], s[12:13], v[2:3] neg_lo:[1,0] neg_hi:[1,0]
	s_waitcnt lgkmcnt(0)
	s_and_b32 s20, s2, 0xffff
	v_lshlrev_b32_e32 v2, 5, v0
	v_cmp_ngt_f32_e64 s[2:3], s3, v4
	v_mov_b32_e32 v1, v3
	s_mov_b32 s21, 0
	v_lshl_add_u64 v[26:27], s[14:15], 0, v[2:3]
	v_cndmask_b32_e64 v2, 0, 1, s[2:3]
	v_mov_b32_e32 v24, v23
	v_mov_b32_e32 v25, v22
	s_mov_b32 s22, s13
	s_mov_b32 s23, s12
	s_lshl_b32 s24, s20, 5
	s_mov_b32 s25, s21
	s_mov_b64 s[26:27], 0
	v_cmp_ne_u32_e64 s[4:5], 1, v2
	v_mov_b64_e32 v[28:29], v[0:1]
	s_branch .LBB21_4
.LBB21_3:                               ;   in Loop: Header=BB21_4 Depth=1
	v_lshl_add_u64 v[28:29], v[28:29], 0, s[20:21]
	v_lshlrev_b64 v[2:3], 2, v[28:29]
	v_cmp_le_i64_e32 vcc, s[16:17], v[2:3]
	s_or_b64 s[26:27], vcc, s[26:27]
	v_lshl_add_u64 v[26:27], v[26:27], 0, s[24:25]
	global_store_dwordx4 v[30:31], v[6:9], off
	global_store_dwordx4 v[30:31], v[14:17], off offset:16
	s_andn2_b64 exec, exec, s[26:27]
	s_cbranch_execz .LBB21_20
.LBB21_4:                               ; =>This Inner Loop Header: Depth=1
	v_lshl_add_u64 v[6:7], s[8:9], 0, v[26:27]
	v_lshl_add_u64 v[30:31], s[6:7], 0, v[26:27]
	global_load_dwordx4 v[18:21], v[6:7], off
	global_load_dwordx4 v[14:17], v[30:31], off
	global_load_dwordx4 v[2:5], v[30:31], off offset:16
	global_load_dwordx4 v[10:13], v[6:7], off offset:16
	s_mov_b64 s[28:29], -1
	s_and_b64 vcc, exec, s[2:3]
                                        ; implicit-def: $vgpr6_vgpr7
	s_waitcnt vmcnt(2)
	v_pk_add_f32 v[8:9], v[18:19], v[14:15] neg_lo:[0,1] neg_hi:[0,1]
	s_cbranch_vccz .LBB21_8
; %bb.5:                                ;   in Loop: Header=BB21_4 Depth=1
	v_pk_mul_f32 v[6:7], v[24:25], v[8:9] op_sel:[0,1]
	s_nop 0
	v_pk_fma_f32 v[32:33], v[22:23], v[8:9], v[6:7] neg_lo:[0,0,1] neg_hi:[0,0,1]
	v_pk_fma_f32 v[6:7], v[22:23], v[8:9], v[6:7] op_sel_hi:[1,0,1]
	s_nop 0
	v_mov_b32_e32 v33, v7
	v_pk_add_f32 v[6:7], v[18:19], v[32:33] neg_lo:[0,1] neg_hi:[0,1]
	s_cbranch_execz .LBB21_9
.LBB21_6:                               ;   in Loop: Header=BB21_4 Depth=1
	v_pk_add_f32 v[14:15], v[20:21], v[16:17] neg_lo:[0,1] neg_hi:[0,1]
	s_and_b64 vcc, exec, s[4:5]
	s_mov_b64 s[28:29], -1
	s_cbranch_vccnz .LBB21_10
.LBB21_7:                               ;   in Loop: Header=BB21_4 Depth=1
	v_pk_mul_f32 v[8:9], v[24:25], v[14:15] op_sel:[0,1]
	s_nop 0
	v_pk_fma_f32 v[18:19], v[22:23], v[14:15], v[8:9] neg_lo:[0,0,1] neg_hi:[0,0,1]
	v_pk_fma_f32 v[8:9], v[22:23], v[14:15], v[8:9] op_sel_hi:[1,0,1]
	s_nop 0
	v_mov_b32_e32 v19, v9
	v_pk_add_f32 v[8:9], v[20:21], v[18:19] neg_lo:[0,1] neg_hi:[0,1]
	s_cbranch_execnz .LBB21_12
	s_branch .LBB21_11
.LBB21_8:                               ;   in Loop: Header=BB21_4 Depth=1
	s_andn2_b64 vcc, exec, s[28:29]
	s_cbranch_vccnz .LBB21_6
.LBB21_9:                               ;   in Loop: Header=BB21_4 Depth=1
	v_pk_mul_f32 v[6:7], v[8:9], s[22:23] op_sel:[1,0]
	s_nop 0
	v_pk_fma_f32 v[18:19], v[8:9], s[12:13], v[6:7] neg_lo:[0,0,1] neg_hi:[0,0,1]
	v_pk_fma_f32 v[6:7], v[8:9], s[12:13], v[6:7] op_sel_hi:[0,1,1]
	v_mov_b32_e32 v19, v7
	v_pk_add_f32 v[6:7], v[14:15], v[18:19]
	v_pk_add_f32 v[14:15], v[20:21], v[16:17] neg_lo:[0,1] neg_hi:[0,1]
	s_and_b64 vcc, exec, s[4:5]
	s_mov_b64 s[28:29], -1
	s_cbranch_vccz .LBB21_7
.LBB21_10:                              ;   in Loop: Header=BB21_4 Depth=1
	s_andn2_b64 vcc, exec, s[28:29]
	s_cbranch_vccnz .LBB21_12
.LBB21_11:                              ;   in Loop: Header=BB21_4 Depth=1
	v_pk_mul_f32 v[8:9], v[14:15], s[22:23] op_sel:[1,0]
	s_nop 0
	v_pk_fma_f32 v[18:19], v[14:15], s[12:13], v[8:9] neg_lo:[0,0,1] neg_hi:[0,0,1]
	v_pk_fma_f32 v[8:9], v[14:15], s[12:13], v[8:9] op_sel_hi:[0,1,1]
	v_mov_b32_e32 v19, v9
	v_pk_add_f32 v[8:9], v[16:17], v[18:19]
.LBB21_12:                              ;   in Loop: Header=BB21_4 Depth=1
	s_waitcnt vmcnt(0)
	v_pk_add_f32 v[16:17], v[10:11], v[2:3] neg_lo:[0,1] neg_hi:[0,1]
	s_and_b64 vcc, exec, s[4:5]
	s_mov_b64 s[28:29], -1
                                        ; implicit-def: $vgpr14_vgpr15
	s_cbranch_vccnz .LBB21_16
; %bb.13:                               ;   in Loop: Header=BB21_4 Depth=1
	v_pk_mul_f32 v[14:15], v[24:25], v[16:17] op_sel:[0,1]
	s_nop 0
	v_pk_fma_f32 v[18:19], v[22:23], v[16:17], v[14:15] neg_lo:[0,0,1] neg_hi:[0,0,1]
	v_pk_fma_f32 v[14:15], v[22:23], v[16:17], v[14:15] op_sel_hi:[1,0,1]
	s_nop 0
	v_mov_b32_e32 v19, v15
	v_pk_add_f32 v[14:15], v[10:11], v[18:19] neg_lo:[0,1] neg_hi:[0,1]
	s_cbranch_execz .LBB21_17
.LBB21_14:                              ;   in Loop: Header=BB21_4 Depth=1
	v_pk_add_f32 v[2:3], v[12:13], v[4:5] neg_lo:[0,1] neg_hi:[0,1]
	s_and_b64 vcc, exec, s[4:5]
	s_mov_b64 s[28:29], -1
	s_cbranch_vccnz .LBB21_18
.LBB21_15:                              ;   in Loop: Header=BB21_4 Depth=1
	v_pk_mul_f32 v[10:11], v[24:25], v[2:3] op_sel:[0,1]
	s_nop 0
	v_pk_fma_f32 v[16:17], v[22:23], v[2:3], v[10:11] neg_lo:[0,0,1] neg_hi:[0,0,1]
	v_pk_fma_f32 v[10:11], v[22:23], v[2:3], v[10:11] op_sel_hi:[1,0,1]
	s_nop 0
	v_mov_b32_e32 v17, v11
	v_pk_add_f32 v[16:17], v[12:13], v[16:17] neg_lo:[0,1] neg_hi:[0,1]
	s_cbranch_execnz .LBB21_3
	s_branch .LBB21_19
.LBB21_16:                              ;   in Loop: Header=BB21_4 Depth=1
	s_andn2_b64 vcc, exec, s[28:29]
	s_cbranch_vccnz .LBB21_14
.LBB21_17:                              ;   in Loop: Header=BB21_4 Depth=1
	v_pk_mul_f32 v[10:11], v[16:17], s[22:23] op_sel:[1,0]
	s_nop 0
	v_pk_fma_f32 v[14:15], v[16:17], s[12:13], v[10:11] neg_lo:[0,0,1] neg_hi:[0,0,1]
	v_pk_fma_f32 v[10:11], v[16:17], s[12:13], v[10:11] op_sel_hi:[0,1,1]
	v_mov_b32_e32 v15, v11
	v_pk_add_f32 v[14:15], v[2:3], v[14:15]
	v_pk_add_f32 v[2:3], v[12:13], v[4:5] neg_lo:[0,1] neg_hi:[0,1]
	s_and_b64 vcc, exec, s[4:5]
	s_mov_b64 s[28:29], -1
	s_cbranch_vccz .LBB21_15
.LBB21_18:                              ;   in Loop: Header=BB21_4 Depth=1
	s_andn2_b64 vcc, exec, s[28:29]
	s_cbranch_vccnz .LBB21_3
.LBB21_19:                              ;   in Loop: Header=BB21_4 Depth=1
	v_pk_mul_f32 v[10:11], v[2:3], s[22:23] op_sel:[1,0]
	s_nop 0
	v_pk_fma_f32 v[12:13], v[2:3], s[12:13], v[10:11] neg_lo:[0,0,1] neg_hi:[0,0,1]
	v_pk_fma_f32 v[2:3], v[2:3], s[12:13], v[10:11] op_sel_hi:[0,1,1]
	v_mov_b32_e32 v13, v3
	v_pk_add_f32 v[16:17], v[4:5], v[12:13]
	s_branch .LBB21_3
.LBB21_20:
	s_or_b64 exec, exec, s[18:19]
	s_mov_b64 s[2:3], 0
.LBB21_21:
	s_andn2_b64 vcc, exec, s[2:3]
	s_cbranch_vccnz .LBB21_57
; %bb.22:
	v_cmp_lt_i64_e64 s[2:3], s[10:11], 1
	s_and_b64 vcc, exec, s[2:3]
	s_cbranch_vccnz .LBB21_57
; %bb.23:
	s_load_dword s2, s[0:1], 0xc64
	v_mov_b64_e32 v[2:3], 0x10000
	v_cmp_lt_i64_e32 vcc, s[10:11], v[2:3]
	s_and_b64 s[0:1], vcc, exec
	s_cselect_b32 s17, s11, 0
	s_cselect_b32 s16, s10, 0x10000
	s_waitcnt lgkmcnt(0)
	s_and_b32 s2, s2, 0xffff
	v_cmp_lt_u64_e32 vcc, s[10:11], v[2:3]
	s_mov_b32 s3, 0
	s_and_b64 s[0:1], vcc, exec
	v_mov_b32_e32 v1, 0
	s_cselect_b32 s19, s11, 0
	s_cselect_b32 s18, s10, 0x10000
	s_mul_i32 s10, s2, 3
	s_mov_b32 s11, s3
	v_pk_mul_f32 v[2:3], s[12:13], s[12:13]
	s_mov_b32 s0, 0x3e800000
	v_add_f32_e32 v2, v2, v3
	v_lshlrev_b32_e32 v16, 3, v0
	v_mov_b32_e32 v17, v1
	v_lshl_add_u64 v[14:15], s[10:11], 0, v[0:1]
	s_lshl_b32 s10, s2, 4
	v_lshl_add_u64 v[22:23], v[0:1], 0, s[2:3]
	s_lshl_b32 s4, s2, 1
	s_mov_b32 s5, s3
	v_cmp_ngt_f32_e64 s[0:1], s0, v2
	v_sub_f32_e64 v2, 1.0, s12
	v_sub_f32_e64 v4, 0, s13
	v_mad_u64_u32 v[12:13], s[24:25], s2, 24, v[16:17]
	v_lshl_add_u64 v[18:19], s[10:11], 0, v[16:17]
	v_lshlrev_b32_e32 v26, 3, v22
	v_mov_b32_e32 v27, v1
	s_lshl_b32 s28, s2, 2
	s_mov_b32 s20, s12
	s_mov_b32 s21, s12
	s_mov_b32 s12, s13
	v_mov_b32_e32 v3, v2
	v_mov_b32_e32 v5, v4
	v_lshl_add_u64 v[6:7], s[8:9], 0, v[16:17]
	s_lshl_b32 s22, s2, 5
	s_mov_b32 s23, s3
	v_lshl_add_u64 v[8:9], s[6:7], 0, v[16:17]
	v_lshl_add_u64 v[10:11], s[8:9], 0, v[12:13]
	;; [unrolled: 1-line block ×8, first 2 shown]
	s_mov_b64 s[24:25], 0
	s_branch .LBB21_25
.LBB21_24:                              ;   in Loop: Header=BB21_25 Depth=1
	s_or_b64 exec, exec, s[2:3]
	s_add_u32 s24, s24, s28
	s_addc_u32 s25, s25, 0
	v_mov_b64_e32 v[28:29], s[16:17]
	v_cmp_ge_i64_e32 vcc, s[24:25], v[28:29]
	v_lshl_add_u64 v[6:7], v[6:7], 0, s[22:23]
	v_lshl_add_u64 v[8:9], v[8:9], 0, s[22:23]
	;; [unrolled: 1-line block ×8, first 2 shown]
	s_cbranch_vccnz .LBB21_57
.LBB21_25:                              ; =>This Inner Loop Header: Depth=1
	v_lshl_add_u64 v[28:29], v[0:1], 0, s[24:25]
	v_cmp_gt_u64_e64 s[2:3], s[18:19], v[28:29]
	v_mov_b32_e32 v36, 0
	v_mov_b32_e32 v37, 0
	;; [unrolled: 1-line block ×4, first 2 shown]
	s_and_saveexec_b64 s[4:5], s[2:3]
	s_cbranch_execz .LBB21_27
; %bb.26:                               ;   in Loop: Header=BB21_25 Depth=1
	v_lshl_add_u64 v[30:31], v[8:9], 0, s[14:15]
	v_lshl_add_u64 v[28:29], v[6:7], 0, s[14:15]
	global_load_dwordx2 v[36:37], v[30:31], off
	global_load_dwordx2 v[44:45], v[28:29], off
.LBB21_27:                              ;   in Loop: Header=BB21_25 Depth=1
	s_or_b64 exec, exec, s[4:5]
	v_lshl_add_u64 v[28:29], v[22:23], 0, s[24:25]
	v_cmp_gt_u64_e64 s[4:5], s[18:19], v[28:29]
	v_mov_b32_e32 v28, 0
	v_mov_b32_e32 v32, 0
	;; [unrolled: 1-line block ×5, first 2 shown]
	s_and_saveexec_b64 s[6:7], s[4:5]
	s_cbranch_execz .LBB21_29
; %bb.28:                               ;   in Loop: Header=BB21_25 Depth=1
	v_lshl_add_u64 v[34:35], v[26:27], 0, s[14:15]
	v_lshl_add_u64 v[30:31], v[24:25], 0, s[14:15]
	global_load_dwordx2 v[32:33], v[34:35], off
	global_load_dwordx2 v[42:43], v[30:31], off
.LBB21_29:                              ;   in Loop: Header=BB21_25 Depth=1
	s_or_b64 exec, exec, s[6:7]
	v_lshl_add_u64 v[30:31], v[20:21], 0, s[24:25]
	v_cmp_gt_u64_e64 s[6:7], s[18:19], v[30:31]
	v_mov_b32_e32 v29, 0
	v_mov_b32_e32 v38, 0
	;; [unrolled: 1-line block ×3, first 2 shown]
	s_and_saveexec_b64 s[8:9], s[6:7]
	s_cbranch_execz .LBB21_31
; %bb.30:                               ;   in Loop: Header=BB21_25 Depth=1
	v_lshl_add_u64 v[34:35], v[18:19], 0, s[14:15]
	v_lshl_add_u64 v[30:31], v[16:17], 0, s[14:15]
	global_load_dwordx2 v[28:29], v[34:35], off
	global_load_dwordx2 v[38:39], v[30:31], off
.LBB21_31:                              ;   in Loop: Header=BB21_25 Depth=1
	s_or_b64 exec, exec, s[8:9]
	v_lshl_add_u64 v[30:31], v[14:15], 0, s[24:25]
	v_cmp_gt_u64_e64 s[8:9], s[18:19], v[30:31]
	v_mov_b32_e32 v30, 0
	v_mov_b32_e32 v31, v30
	;; [unrolled: 1-line block ×4, first 2 shown]
	s_and_saveexec_b64 s[10:11], s[8:9]
	s_cbranch_execz .LBB21_33
; %bb.32:                               ;   in Loop: Header=BB21_25 Depth=1
	v_lshl_add_u64 v[46:47], v[12:13], 0, s[14:15]
	v_lshl_add_u64 v[40:41], v[10:11], 0, s[14:15]
	global_load_dwordx2 v[30:31], v[46:47], off
	global_load_dwordx2 v[34:35], v[40:41], off
.LBB21_33:                              ;   in Loop: Header=BB21_25 Depth=1
	s_or_b64 exec, exec, s[10:11]
	s_waitcnt vmcnt(0)
	v_pk_add_f32 v[46:47], v[44:45], v[36:37] neg_lo:[0,1] neg_hi:[0,1]
	s_mov_b64 s[10:11], -1
	s_and_b64 vcc, exec, s[0:1]
                                        ; implicit-def: $vgpr40_vgpr41
	s_cbranch_vccz .LBB21_35
; %bb.34:                               ;   in Loop: Header=BB21_25 Depth=1
	v_pk_mul_f32 v[40:41], v[4:5], v[46:47] op_sel:[0,1] op_sel_hi:[1,0]
	s_mov_b64 s[10:11], 0
	v_pk_fma_f32 v[48:49], v[2:3], v[46:47], v[40:41] neg_lo:[0,0,1] neg_hi:[0,0,1]
	v_pk_fma_f32 v[40:41], v[2:3], v[46:47], v[40:41]
	s_nop 0
	v_mov_b32_e32 v49, v41
	v_pk_add_f32 v[40:41], v[44:45], v[48:49] neg_lo:[0,1] neg_hi:[0,1]
.LBB21_35:                              ;   in Loop: Header=BB21_25 Depth=1
	s_andn2_b64 vcc, exec, s[10:11]
	s_cbranch_vccnz .LBB21_37
; %bb.36:                               ;   in Loop: Header=BB21_25 Depth=1
	v_pk_mul_f32 v[40:41], v[46:47], s[12:13] op_sel:[1,0] op_sel_hi:[0,1]
	v_pk_fma_f32 v[44:45], v[46:47], s[20:21], v[40:41] neg_lo:[0,0,1] neg_hi:[0,0,1]
	v_pk_fma_f32 v[40:41], v[46:47], s[20:21], v[40:41]
	s_nop 0
	v_mov_b32_e32 v45, v41
	v_pk_add_f32 v[40:41], v[36:37], v[44:45]
.LBB21_37:                              ;   in Loop: Header=BB21_25 Depth=1
	v_cndmask_b32_e64 v36, 0, 1, s[0:1]
	v_pk_add_f32 v[44:45], v[42:43], v[32:33] neg_lo:[0,1] neg_hi:[0,1]
	v_cmp_ne_u32_e64 s[10:11], 1, v36
	s_andn2_b64 vcc, exec, s[0:1]
	s_mov_b64 s[26:27], -1
                                        ; implicit-def: $vgpr36_vgpr37
	s_cbranch_vccnz .LBB21_39
; %bb.38:                               ;   in Loop: Header=BB21_25 Depth=1
	v_pk_mul_f32 v[36:37], v[4:5], v[44:45] op_sel:[0,1] op_sel_hi:[1,0]
	s_nop 0
	v_pk_fma_f32 v[46:47], v[2:3], v[44:45], v[36:37] neg_lo:[0,0,1] neg_hi:[0,0,1]
	v_pk_fma_f32 v[36:37], v[2:3], v[44:45], v[36:37]
	s_nop 0
	v_mov_b32_e32 v47, v37
	v_pk_add_f32 v[36:37], v[42:43], v[46:47] neg_lo:[0,1] neg_hi:[0,1]
	s_cbranch_execnz .LBB21_41
	s_branch .LBB21_40
.LBB21_39:                              ;   in Loop: Header=BB21_25 Depth=1
	s_andn2_b64 vcc, exec, s[26:27]
	s_cbranch_vccnz .LBB21_41
.LBB21_40:                              ;   in Loop: Header=BB21_25 Depth=1
	v_pk_mul_f32 v[36:37], v[44:45], s[12:13] op_sel:[1,0] op_sel_hi:[0,1]
	v_pk_fma_f32 v[42:43], v[44:45], s[20:21], v[36:37] neg_lo:[0,0,1] neg_hi:[0,0,1]
	v_pk_fma_f32 v[36:37], v[44:45], s[20:21], v[36:37]
	s_nop 0
	v_mov_b32_e32 v43, v37
	v_pk_add_f32 v[36:37], v[32:33], v[42:43]
.LBB21_41:                              ;   in Loop: Header=BB21_25 Depth=1
	v_pk_add_f32 v[42:43], v[38:39], v[28:29] neg_lo:[0,1] neg_hi:[0,1]
	s_and_b64 vcc, exec, s[10:11]
	s_mov_b64 s[26:27], -1
                                        ; implicit-def: $vgpr32_vgpr33
	s_cbranch_vccnz .LBB21_43
; %bb.42:                               ;   in Loop: Header=BB21_25 Depth=1
	v_pk_mul_f32 v[32:33], v[4:5], v[42:43] op_sel:[0,1] op_sel_hi:[1,0]
	s_nop 0
	v_pk_fma_f32 v[44:45], v[2:3], v[42:43], v[32:33] neg_lo:[0,0,1] neg_hi:[0,0,1]
	v_pk_fma_f32 v[32:33], v[2:3], v[42:43], v[32:33]
	s_nop 0
	v_mov_b32_e32 v45, v33
	v_pk_add_f32 v[32:33], v[38:39], v[44:45] neg_lo:[0,1] neg_hi:[0,1]
	s_cbranch_execnz .LBB21_45
	s_branch .LBB21_44
.LBB21_43:                              ;   in Loop: Header=BB21_25 Depth=1
	s_andn2_b64 vcc, exec, s[26:27]
	s_cbranch_vccnz .LBB21_45
.LBB21_44:                              ;   in Loop: Header=BB21_25 Depth=1
	v_pk_mul_f32 v[32:33], v[42:43], s[12:13] op_sel:[1,0] op_sel_hi:[0,1]
	v_pk_fma_f32 v[38:39], v[42:43], s[20:21], v[32:33] neg_lo:[0,0,1] neg_hi:[0,0,1]
	v_pk_fma_f32 v[32:33], v[42:43], s[20:21], v[32:33]
	s_nop 0
	v_mov_b32_e32 v39, v33
	v_pk_add_f32 v[32:33], v[28:29], v[38:39]
.LBB21_45:                              ;   in Loop: Header=BB21_25 Depth=1
	v_pk_add_f32 v[38:39], v[34:35], v[30:31] neg_lo:[0,1] neg_hi:[0,1]
	s_and_b64 vcc, exec, s[10:11]
	s_mov_b64 s[10:11], -1
                                        ; implicit-def: $vgpr28_vgpr29
	s_cbranch_vccnz .LBB21_51
; %bb.46:                               ;   in Loop: Header=BB21_25 Depth=1
	v_pk_mul_f32 v[28:29], v[4:5], v[38:39] op_sel:[0,1] op_sel_hi:[1,0]
	s_nop 0
	v_pk_fma_f32 v[42:43], v[2:3], v[38:39], v[28:29] neg_lo:[0,0,1] neg_hi:[0,0,1]
	v_pk_fma_f32 v[28:29], v[2:3], v[38:39], v[28:29]
	s_nop 0
	v_mov_b32_e32 v43, v29
	v_pk_add_f32 v[28:29], v[34:35], v[42:43] neg_lo:[0,1] neg_hi:[0,1]
	s_cbranch_execz .LBB21_52
.LBB21_47:                              ;   in Loop: Header=BB21_25 Depth=1
	s_and_saveexec_b64 s[10:11], s[2:3]
	s_xor_b64 s[2:3], exec, s[10:11]
	s_cbranch_execz .LBB21_53
.LBB21_48:                              ;   in Loop: Header=BB21_25 Depth=1
	v_lshl_add_u64 v[30:31], v[8:9], 0, s[14:15]
	global_store_dwordx2 v[30:31], v[40:41], off
	s_or_b64 exec, exec, s[2:3]
	s_and_saveexec_b64 s[2:3], s[4:5]
	s_cbranch_execnz .LBB21_54
.LBB21_49:                              ;   in Loop: Header=BB21_25 Depth=1
	s_or_b64 exec, exec, s[2:3]
	s_and_saveexec_b64 s[2:3], s[6:7]
	s_cbranch_execz .LBB21_55
.LBB21_50:                              ;   in Loop: Header=BB21_25 Depth=1
	v_lshl_add_u64 v[30:31], v[18:19], 0, s[14:15]
	global_store_dwordx2 v[30:31], v[32:33], off
	s_or_b64 exec, exec, s[2:3]
	s_and_saveexec_b64 s[2:3], s[8:9]
	s_cbranch_execz .LBB21_24
	s_branch .LBB21_56
.LBB21_51:                              ;   in Loop: Header=BB21_25 Depth=1
	s_andn2_b64 vcc, exec, s[10:11]
	s_cbranch_vccnz .LBB21_47
.LBB21_52:                              ;   in Loop: Header=BB21_25 Depth=1
	v_pk_mul_f32 v[28:29], v[38:39], s[12:13] op_sel:[1,0] op_sel_hi:[0,1]
	v_pk_fma_f32 v[34:35], v[38:39], s[20:21], v[28:29] neg_lo:[0,0,1] neg_hi:[0,0,1]
	v_pk_fma_f32 v[28:29], v[38:39], s[20:21], v[28:29]
	s_nop 0
	v_mov_b32_e32 v35, v29
	v_pk_add_f32 v[28:29], v[30:31], v[34:35]
	s_and_saveexec_b64 s[10:11], s[2:3]
	s_xor_b64 s[2:3], exec, s[10:11]
	s_cbranch_execnz .LBB21_48
.LBB21_53:                              ;   in Loop: Header=BB21_25 Depth=1
	s_or_b64 exec, exec, s[2:3]
	s_and_saveexec_b64 s[2:3], s[4:5]
	s_cbranch_execz .LBB21_49
.LBB21_54:                              ;   in Loop: Header=BB21_25 Depth=1
	v_lshl_add_u64 v[30:31], v[26:27], 0, s[14:15]
	global_store_dwordx2 v[30:31], v[36:37], off
	s_or_b64 exec, exec, s[2:3]
	s_and_saveexec_b64 s[2:3], s[6:7]
	s_cbranch_execnz .LBB21_50
.LBB21_55:                              ;   in Loop: Header=BB21_25 Depth=1
	s_or_b64 exec, exec, s[2:3]
	s_and_saveexec_b64 s[2:3], s[8:9]
	s_cbranch_execz .LBB21_24
.LBB21_56:                              ;   in Loop: Header=BB21_25 Depth=1
	v_lshl_add_u64 v[30:31], v[12:13], 0, s[14:15]
	global_store_dwordx2 v[30:31], v[28:29], off
	s_branch .LBB21_24
.LBB21_57:
	s_endpgm
	.section	.rodata,"a",@progbits
	.p2align	6, 0x0
	.amdhsa_kernel _ZN2at6native12_GLOBAL__N_125multi_tensor_apply_kernelINS1_18TensorListMetadataILi2EEENS1_22TernaryOpScalarFunctorIN3c107complexIfEELi2ELi2ELi0EEEJNS0_11LerpFunctorIS8_EES8_EEEvT_T0_DpT1_
		.amdhsa_group_segment_fixed_size 0
		.amdhsa_private_segment_fixed_size 0
		.amdhsa_kernarg_size 3416
		.amdhsa_user_sgpr_count 2
		.amdhsa_user_sgpr_dispatch_ptr 0
		.amdhsa_user_sgpr_queue_ptr 0
		.amdhsa_user_sgpr_kernarg_segment_ptr 1
		.amdhsa_user_sgpr_dispatch_id 0
		.amdhsa_user_sgpr_kernarg_preload_length 0
		.amdhsa_user_sgpr_kernarg_preload_offset 0
		.amdhsa_user_sgpr_private_segment_size 0
		.amdhsa_uses_dynamic_stack 0
		.amdhsa_enable_private_segment 0
		.amdhsa_system_sgpr_workgroup_id_x 1
		.amdhsa_system_sgpr_workgroup_id_y 0
		.amdhsa_system_sgpr_workgroup_id_z 0
		.amdhsa_system_sgpr_workgroup_info 0
		.amdhsa_system_vgpr_workitem_id 0
		.amdhsa_next_free_vgpr 50
		.amdhsa_next_free_sgpr 30
		.amdhsa_accum_offset 52
		.amdhsa_reserve_vcc 1
		.amdhsa_float_round_mode_32 0
		.amdhsa_float_round_mode_16_64 0
		.amdhsa_float_denorm_mode_32 3
		.amdhsa_float_denorm_mode_16_64 3
		.amdhsa_dx10_clamp 1
		.amdhsa_ieee_mode 1
		.amdhsa_fp16_overflow 0
		.amdhsa_tg_split 0
		.amdhsa_exception_fp_ieee_invalid_op 0
		.amdhsa_exception_fp_denorm_src 0
		.amdhsa_exception_fp_ieee_div_zero 0
		.amdhsa_exception_fp_ieee_overflow 0
		.amdhsa_exception_fp_ieee_underflow 0
		.amdhsa_exception_fp_ieee_inexact 0
		.amdhsa_exception_int_div_zero 0
	.end_amdhsa_kernel
	.section	.text._ZN2at6native12_GLOBAL__N_125multi_tensor_apply_kernelINS1_18TensorListMetadataILi2EEENS1_22TernaryOpScalarFunctorIN3c107complexIfEELi2ELi2ELi0EEEJNS0_11LerpFunctorIS8_EES8_EEEvT_T0_DpT1_,"axG",@progbits,_ZN2at6native12_GLOBAL__N_125multi_tensor_apply_kernelINS1_18TensorListMetadataILi2EEENS1_22TernaryOpScalarFunctorIN3c107complexIfEELi2ELi2ELi0EEEJNS0_11LerpFunctorIS8_EES8_EEEvT_T0_DpT1_,comdat
.Lfunc_end21:
	.size	_ZN2at6native12_GLOBAL__N_125multi_tensor_apply_kernelINS1_18TensorListMetadataILi2EEENS1_22TernaryOpScalarFunctorIN3c107complexIfEELi2ELi2ELi0EEEJNS0_11LerpFunctorIS8_EES8_EEEvT_T0_DpT1_, .Lfunc_end21-_ZN2at6native12_GLOBAL__N_125multi_tensor_apply_kernelINS1_18TensorListMetadataILi2EEENS1_22TernaryOpScalarFunctorIN3c107complexIfEELi2ELi2ELi0EEEJNS0_11LerpFunctorIS8_EES8_EEEvT_T0_DpT1_
                                        ; -- End function
	.set _ZN2at6native12_GLOBAL__N_125multi_tensor_apply_kernelINS1_18TensorListMetadataILi2EEENS1_22TernaryOpScalarFunctorIN3c107complexIfEELi2ELi2ELi0EEEJNS0_11LerpFunctorIS8_EES8_EEEvT_T0_DpT1_.num_vgpr, 50
	.set _ZN2at6native12_GLOBAL__N_125multi_tensor_apply_kernelINS1_18TensorListMetadataILi2EEENS1_22TernaryOpScalarFunctorIN3c107complexIfEELi2ELi2ELi0EEEJNS0_11LerpFunctorIS8_EES8_EEEvT_T0_DpT1_.num_agpr, 0
	.set _ZN2at6native12_GLOBAL__N_125multi_tensor_apply_kernelINS1_18TensorListMetadataILi2EEENS1_22TernaryOpScalarFunctorIN3c107complexIfEELi2ELi2ELi0EEEJNS0_11LerpFunctorIS8_EES8_EEEvT_T0_DpT1_.numbered_sgpr, 30
	.set _ZN2at6native12_GLOBAL__N_125multi_tensor_apply_kernelINS1_18TensorListMetadataILi2EEENS1_22TernaryOpScalarFunctorIN3c107complexIfEELi2ELi2ELi0EEEJNS0_11LerpFunctorIS8_EES8_EEEvT_T0_DpT1_.num_named_barrier, 0
	.set _ZN2at6native12_GLOBAL__N_125multi_tensor_apply_kernelINS1_18TensorListMetadataILi2EEENS1_22TernaryOpScalarFunctorIN3c107complexIfEELi2ELi2ELi0EEEJNS0_11LerpFunctorIS8_EES8_EEEvT_T0_DpT1_.private_seg_size, 0
	.set _ZN2at6native12_GLOBAL__N_125multi_tensor_apply_kernelINS1_18TensorListMetadataILi2EEENS1_22TernaryOpScalarFunctorIN3c107complexIfEELi2ELi2ELi0EEEJNS0_11LerpFunctorIS8_EES8_EEEvT_T0_DpT1_.uses_vcc, 1
	.set _ZN2at6native12_GLOBAL__N_125multi_tensor_apply_kernelINS1_18TensorListMetadataILi2EEENS1_22TernaryOpScalarFunctorIN3c107complexIfEELi2ELi2ELi0EEEJNS0_11LerpFunctorIS8_EES8_EEEvT_T0_DpT1_.uses_flat_scratch, 0
	.set _ZN2at6native12_GLOBAL__N_125multi_tensor_apply_kernelINS1_18TensorListMetadataILi2EEENS1_22TernaryOpScalarFunctorIN3c107complexIfEELi2ELi2ELi0EEEJNS0_11LerpFunctorIS8_EES8_EEEvT_T0_DpT1_.has_dyn_sized_stack, 0
	.set _ZN2at6native12_GLOBAL__N_125multi_tensor_apply_kernelINS1_18TensorListMetadataILi2EEENS1_22TernaryOpScalarFunctorIN3c107complexIfEELi2ELi2ELi0EEEJNS0_11LerpFunctorIS8_EES8_EEEvT_T0_DpT1_.has_recursion, 0
	.set _ZN2at6native12_GLOBAL__N_125multi_tensor_apply_kernelINS1_18TensorListMetadataILi2EEENS1_22TernaryOpScalarFunctorIN3c107complexIfEELi2ELi2ELi0EEEJNS0_11LerpFunctorIS8_EES8_EEEvT_T0_DpT1_.has_indirect_call, 0
	.section	.AMDGPU.csdata,"",@progbits
; Kernel info:
; codeLenInByte = 2356
; TotalNumSgprs: 36
; NumVgprs: 50
; NumAgprs: 0
; TotalNumVgprs: 50
; ScratchSize: 0
; MemoryBound: 1
; FloatMode: 240
; IeeeMode: 1
; LDSByteSize: 0 bytes/workgroup (compile time only)
; SGPRBlocks: 4
; VGPRBlocks: 6
; NumSGPRsForWavesPerEU: 36
; NumVGPRsForWavesPerEU: 50
; AccumOffset: 52
; Occupancy: 8
; WaveLimiterHint : 0
; COMPUTE_PGM_RSRC2:SCRATCH_EN: 0
; COMPUTE_PGM_RSRC2:USER_SGPR: 2
; COMPUTE_PGM_RSRC2:TRAP_HANDLER: 0
; COMPUTE_PGM_RSRC2:TGID_X_EN: 1
; COMPUTE_PGM_RSRC2:TGID_Y_EN: 0
; COMPUTE_PGM_RSRC2:TGID_Z_EN: 0
; COMPUTE_PGM_RSRC2:TIDIG_COMP_CNT: 0
; COMPUTE_PGM_RSRC3_GFX90A:ACCUM_OFFSET: 12
; COMPUTE_PGM_RSRC3_GFX90A:TG_SPLIT: 0
	.section	.text._ZN2at6native12_GLOBAL__N_125multi_tensor_apply_kernelINS1_18TensorListMetadataILi2EEENS1_22TernaryOpScalarFunctorIN3c104HalfELi2ELi2ELi0EEEJNS0_11LerpFunctorIfEEfEEEvT_T0_DpT1_,"axG",@progbits,_ZN2at6native12_GLOBAL__N_125multi_tensor_apply_kernelINS1_18TensorListMetadataILi2EEENS1_22TernaryOpScalarFunctorIN3c104HalfELi2ELi2ELi0EEEJNS0_11LerpFunctorIfEEfEEEvT_T0_DpT1_,comdat
	.globl	_ZN2at6native12_GLOBAL__N_125multi_tensor_apply_kernelINS1_18TensorListMetadataILi2EEENS1_22TernaryOpScalarFunctorIN3c104HalfELi2ELi2ELi0EEEJNS0_11LerpFunctorIfEEfEEEvT_T0_DpT1_ ; -- Begin function _ZN2at6native12_GLOBAL__N_125multi_tensor_apply_kernelINS1_18TensorListMetadataILi2EEENS1_22TernaryOpScalarFunctorIN3c104HalfELi2ELi2ELi0EEEJNS0_11LerpFunctorIfEEfEEEvT_T0_DpT1_
	.p2align	8
	.type	_ZN2at6native12_GLOBAL__N_125multi_tensor_apply_kernelINS1_18TensorListMetadataILi2EEENS1_22TernaryOpScalarFunctorIN3c104HalfELi2ELi2ELi0EEEJNS0_11LerpFunctorIfEEfEEEvT_T0_DpT1_,@function
_ZN2at6native12_GLOBAL__N_125multi_tensor_apply_kernelINS1_18TensorListMetadataILi2EEENS1_22TernaryOpScalarFunctorIN3c104HalfELi2ELi2ELi0EEEJNS0_11LerpFunctorIfEEfEEEvT_T0_DpT1_: ; @_ZN2at6native12_GLOBAL__N_125multi_tensor_apply_kernelINS1_18TensorListMetadataILi2EEENS1_22TernaryOpScalarFunctorIN3c104HalfELi2ELi2ELi0EEEJNS0_11LerpFunctorIfEEfEEEvT_T0_DpT1_
; %bb.0:
	v_mov_b32_e32 v1, s2
	global_load_ubyte v1, v1, s[0:1] offset:1536
	s_add_u32 s4, s0, s2
	s_mul_hi_u32 s5, s2, 3
	s_mul_i32 s2, s2, 3
	s_addc_u32 s6, s1, 0
	s_add_u32 s4, s4, s2
	s_addc_u32 s5, s6, s5
	s_load_dword s14, s[4:5], 0x740
	s_mov_b32 s3, 0
	s_mov_b32 s13, s3
	s_waitcnt lgkmcnt(0)
	s_ashr_i32 s15, s14, 31
	s_lshl_b64 s[10:11], s[14:15], 17
	s_lshl_b64 s[14:15], s[14:15], 16
	s_waitcnt vmcnt(0)
	v_readfirstlane_b32 s2, v1
	s_lshl_b32 s2, s2, 3
	s_load_dword s8, s[0:1], 0xc4c
	s_load_dwordx2 s[16:17], s[0:1], s2 offset:0x400
	s_load_dwordx2 s[4:5], s[0:1], s2 offset:0x0
	s_load_dwordx2 s[6:7], s[0:1], s2 offset:0x200
	s_waitcnt lgkmcnt(0)
	s_add_u32 s2, s4, s10
	s_and_b32 s12, s6, 7
	s_and_b32 s2, s2, 7
	s_sub_u32 s14, s16, s14
	s_subb_u32 s15, s17, s15
	s_and_b32 s16, s16, 3
	s_mov_b32 s17, s3
	s_or_b64 s[12:13], s[12:13], s[16:17]
	s_or_b64 s[2:3], s[12:13], s[2:3]
	s_cmp_eq_u64 s[2:3], 0
	s_mov_b64 s[2:3], -1
	s_cbranch_scc0 .LBB22_5
; %bb.1:
	v_mov_b64_e32 v[2:3], 0x10000
	v_cmp_lt_i64_e32 vcc, s[14:15], v[2:3]
	s_and_b64 s[2:3], vcc, exec
	v_mov_b32_e32 v5, 0
	s_cselect_b32 s13, s15, 0
	s_cselect_b32 s12, s14, 0x10000
	v_lshlrev_b32_e32 v4, 2, v0
	v_cmp_gt_i64_e32 vcc, s[12:13], v[4:5]
	s_and_saveexec_b64 s[16:17], vcc
	s_cbranch_execz .LBB22_4
; %bb.2:
	s_load_dword s2, s[0:1], 0xc5c
	v_sub_f32_e64 v2, 1.0, s8
	v_mov_b32_e32 v1, v5
	s_mov_b32 s19, 0
	v_lshlrev_b32_e32 v4, 3, v0
	s_waitcnt lgkmcnt(0)
	s_and_b32 s18, s2, 0xffff
	v_xor_b32_e32 v6, 0x80000000, v2
	v_cmp_lt_f32_e64 vcc, |s8|, 0.5
	s_mov_b32 s9, s8
	s_mov_b32 s20, s8
	;; [unrolled: 1-line block ×3, first 2 shown]
	v_mov_b32_e32 v3, v2
	v_lshl_add_u64 v[4:5], s[10:11], 0, v[4:5]
	s_lshl_b32 s22, s18, 3
	s_mov_b32 s23, s19
	s_mov_b64 s[24:25], 0
	v_mov_b32_e32 v7, v6
	v_mov_b64_e32 v[8:9], v[0:1]
.LBB22_3:                               ; =>This Inner Loop Header: Depth=1
	v_lshl_add_u64 v[10:11], s[4:5], 0, v[4:5]
	v_lshl_add_u64 v[12:13], s[6:7], 0, v[4:5]
	global_load_dwordx2 v[14:15], v[10:11], off
	global_load_dwordx2 v[16:17], v[12:13], off
	v_lshl_add_u64 v[8:9], v[8:9], 0, s[18:19]
	v_lshlrev_b64 v[12:13], 2, v[8:9]
	v_cmp_le_i64_e64 s[2:3], s[12:13], v[12:13]
	v_lshl_add_u64 v[4:5], v[4:5], 0, s[22:23]
	s_or_b64 s[24:25], s[2:3], s[24:25]
	s_waitcnt vmcnt(1)
	v_cvt_f32_f16_sdwa v13, v15 dst_sel:DWORD dst_unused:UNUSED_PAD src0_sel:WORD_1
	v_cvt_f32_f16_e32 v12, v15
	v_cvt_f32_f16_sdwa v15, v14 dst_sel:DWORD dst_unused:UNUSED_PAD src0_sel:WORD_1
	v_cvt_f32_f16_e32 v14, v14
	s_waitcnt vmcnt(0)
	v_cvt_f32_f16_e32 v18, v16
	v_cvt_f32_f16_sdwa v19, v16 dst_sel:DWORD dst_unused:UNUSED_PAD src0_sel:WORD_1
	v_cvt_f32_f16_e32 v16, v17
	v_cvt_f32_f16_sdwa v17, v17 dst_sel:DWORD dst_unused:UNUSED_PAD src0_sel:WORD_1
	v_sub_f32_e32 v20, v18, v14
	v_sub_f32_e32 v21, v19, v15
	v_sub_f32_e32 v22, v16, v12
	v_sub_f32_e32 v23, v17, v13
	v_pk_fma_f32 v[12:13], s[20:21], v[22:23], v[12:13]
	v_pk_fma_f32 v[14:15], s[8:9], v[20:21], v[14:15]
	;; [unrolled: 1-line block ×3, first 2 shown]
	v_pk_fma_f32 v[18:19], v[2:3], v[20:21], v[18:19] neg_lo:[1,0,0] neg_hi:[1,0,0]
	v_cndmask_b32_e32 v13, v17, v13, vcc
	v_cndmask_b32_e32 v1, v19, v15, vcc
	;; [unrolled: 1-line block ×4, first 2 shown]
	v_cvt_pk_f16_f32 v13, v12, v13
	v_cvt_pk_f16_f32 v12, v14, v1
	global_store_dwordx2 v[10:11], v[12:13], off
	s_andn2_b64 exec, exec, s[24:25]
	s_cbranch_execnz .LBB22_3
.LBB22_4:
	s_or_b64 exec, exec, s[16:17]
	s_mov_b64 s[2:3], 0
.LBB22_5:
	s_andn2_b64 vcc, exec, s[2:3]
	s_cbranch_vccnz .LBB22_25
; %bb.6:
	v_cmp_lt_i64_e64 s[2:3], s[14:15], 1
	s_and_b64 vcc, exec, s[2:3]
	s_cbranch_vccnz .LBB22_25
; %bb.7:
	s_load_dword s2, s[0:1], 0xc5c
	v_mov_b64_e32 v[2:3], 0x10000
	v_cmp_lt_i64_e32 vcc, s[14:15], v[2:3]
	s_and_b64 s[0:1], vcc, exec
	s_cselect_b32 s13, s15, 0
	s_cselect_b32 s12, s14, 0x10000
	s_waitcnt lgkmcnt(0)
	s_and_b32 s2, s2, 0xffff
	v_cmp_lt_u64_e32 vcc, s[14:15], v[2:3]
	s_mov_b32 s3, 0
	v_mov_b32_e32 v1, 0
	s_and_b64 s[0:1], vcc, exec
	s_cselect_b32 s15, s15, 0
	s_cselect_b32 s14, s14, 0x10000
	s_lshl_b32 s16, s2, 2
	s_mov_b32 s17, s3
	v_lshlrev_b32_e32 v12, 1, v0
	v_mov_b32_e32 v13, v1
	v_lshl_add_u64 v[18:19], v[0:1], 0, s[2:3]
	s_lshl_b32 s20, s2, 1
	s_mov_b32 s21, s3
	s_mul_i32 s22, s2, 3
	s_mov_b32 s23, s3
	v_mad_u64_u32 v[8:9], s[24:25], s2, 6, v[12:13]
	v_lshl_add_u64 v[14:15], s[16:17], 0, v[12:13]
	v_lshlrev_b32_e32 v22, 1, v18
	v_mov_b32_e32 v23, v1
	v_cmp_lt_f32_e64 s[0:1], |s8|, 0.5
	v_sub_f32_e64 v24, 1.0, s8
	v_lshl_add_u64 v[2:3], s[4:5], 0, v[12:13]
	s_lshl_b32 s18, s2, 3
	s_mov_b32 s19, s3
	v_lshl_add_u64 v[4:5], s[6:7], 0, v[12:13]
	v_lshl_add_u64 v[6:7], s[4:5], 0, v[8:9]
	;; [unrolled: 1-line block ×9, first 2 shown]
	s_mov_b64 s[20:21], 0
	s_branch .LBB22_9
.LBB22_8:                               ;   in Loop: Header=BB22_9 Depth=1
	s_or_b64 exec, exec, s[2:3]
	s_add_u32 s20, s20, s16
	s_addc_u32 s21, s21, 0
	v_mov_b64_e32 v[26:27], s[12:13]
	v_cmp_ge_i64_e32 vcc, s[20:21], v[26:27]
	v_lshl_add_u64 v[2:3], v[2:3], 0, s[18:19]
	v_lshl_add_u64 v[4:5], v[4:5], 0, s[18:19]
	;; [unrolled: 1-line block ×8, first 2 shown]
	s_cbranch_vccnz .LBB22_25
.LBB22_9:                               ; =>This Inner Loop Header: Depth=1
	v_lshl_add_u64 v[26:27], v[0:1], 0, s[20:21]
	v_cmp_gt_u64_e32 vcc, s[14:15], v[26:27]
	v_mov_b32_e32 v27, 0
	v_mov_b32_e32 v26, 0
	s_and_saveexec_b64 s[2:3], vcc
	s_cbranch_execz .LBB22_11
; %bb.10:                               ;   in Loop: Header=BB22_9 Depth=1
	v_lshl_add_u64 v[28:29], v[2:3], 0, s[10:11]
	v_lshl_add_u64 v[26:27], v[4:5], 0, s[10:11]
	global_load_ushort v25, v[28:29], off
	global_load_ushort v30, v[26:27], off
	s_waitcnt vmcnt(1)
	v_cvt_f32_f16_e32 v26, v25
	s_waitcnt vmcnt(0)
	v_cvt_f32_f16_e32 v27, v30
.LBB22_11:                              ;   in Loop: Header=BB22_9 Depth=1
	s_or_b64 exec, exec, s[2:3]
	v_lshl_add_u64 v[28:29], v[18:19], 0, s[20:21]
	v_cmp_gt_u64_e64 s[2:3], s[14:15], v[28:29]
	v_mov_b32_e32 v25, 0
	v_mov_b32_e32 v29, 0
	;; [unrolled: 1-line block ×3, first 2 shown]
	s_and_saveexec_b64 s[4:5], s[2:3]
	s_cbranch_execz .LBB22_13
; %bb.12:                               ;   in Loop: Header=BB22_9 Depth=1
	v_lshl_add_u64 v[30:31], v[20:21], 0, s[10:11]
	v_lshl_add_u64 v[28:29], v[22:23], 0, s[10:11]
	global_load_ushort v32, v[30:31], off
	global_load_ushort v33, v[28:29], off
	s_waitcnt vmcnt(1)
	v_cvt_f32_f16_e32 v28, v32
	s_waitcnt vmcnt(0)
	v_cvt_f32_f16_e32 v29, v33
.LBB22_13:                              ;   in Loop: Header=BB22_9 Depth=1
	s_or_b64 exec, exec, s[4:5]
	v_lshl_add_u64 v[30:31], v[16:17], 0, s[20:21]
	v_cmp_gt_u64_e64 s[4:5], s[14:15], v[30:31]
	v_mov_b32_e32 v30, 0
	s_and_saveexec_b64 s[6:7], s[4:5]
	s_cbranch_execz .LBB22_15
; %bb.14:                               ;   in Loop: Header=BB22_9 Depth=1
	v_lshl_add_u64 v[32:33], v[12:13], 0, s[10:11]
	v_lshl_add_u64 v[30:31], v[14:15], 0, s[10:11]
	global_load_ushort v25, v[32:33], off
	global_load_ushort v34, v[30:31], off
	s_waitcnt vmcnt(1)
	v_cvt_f32_f16_e32 v30, v25
	s_waitcnt vmcnt(0)
	v_cvt_f32_f16_e32 v25, v34
.LBB22_15:                              ;   in Loop: Header=BB22_9 Depth=1
	s_or_b64 exec, exec, s[6:7]
	v_lshl_add_u64 v[32:33], v[10:11], 0, s[20:21]
	v_cmp_gt_u64_e64 s[6:7], s[14:15], v[32:33]
	v_mov_b32_e32 v31, 0
	v_mov_b32_e32 v32, 0
	s_and_saveexec_b64 s[22:23], s[6:7]
	s_cbranch_execnz .LBB22_20
; %bb.16:                               ;   in Loop: Header=BB22_9 Depth=1
	s_or_b64 exec, exec, s[22:23]
	s_and_saveexec_b64 s[22:23], vcc
	s_cbranch_execnz .LBB22_21
.LBB22_17:                              ;   in Loop: Header=BB22_9 Depth=1
	s_or_b64 exec, exec, s[22:23]
	s_and_saveexec_b64 s[22:23], s[2:3]
	s_cbranch_execnz .LBB22_22
.LBB22_18:                              ;   in Loop: Header=BB22_9 Depth=1
	s_or_b64 exec, exec, s[22:23]
	s_and_saveexec_b64 s[2:3], s[4:5]
	s_cbranch_execnz .LBB22_23
.LBB22_19:                              ;   in Loop: Header=BB22_9 Depth=1
	s_or_b64 exec, exec, s[2:3]
	s_and_saveexec_b64 s[2:3], s[6:7]
	s_cbranch_execz .LBB22_8
	s_branch .LBB22_24
.LBB22_20:                              ;   in Loop: Header=BB22_9 Depth=1
	v_lshl_add_u64 v[34:35], v[6:7], 0, s[10:11]
	v_lshl_add_u64 v[32:33], v[8:9], 0, s[10:11]
	global_load_ushort v31, v[34:35], off
	global_load_ushort v36, v[32:33], off
	s_waitcnt vmcnt(1)
	v_cvt_f32_f16_e32 v32, v31
	s_waitcnt vmcnt(0)
	v_cvt_f32_f16_e32 v31, v36
	s_or_b64 exec, exec, s[22:23]
	s_and_saveexec_b64 s[22:23], vcc
	s_cbranch_execz .LBB22_17
.LBB22_21:                              ;   in Loop: Header=BB22_9 Depth=1
	v_sub_f32_e32 v33, v27, v26
	v_fmac_f32_e32 v26, s8, v33
	v_fma_f32 v27, -v24, v33, v27
	v_cndmask_b32_e64 v26, v27, v26, s[0:1]
	v_cvt_f16_f32_e32 v33, v26
	v_lshl_add_u64 v[26:27], v[2:3], 0, s[10:11]
	global_store_short v[26:27], v33, off
	s_or_b64 exec, exec, s[22:23]
	s_and_saveexec_b64 s[22:23], s[2:3]
	s_cbranch_execz .LBB22_18
.LBB22_22:                              ;   in Loop: Header=BB22_9 Depth=1
	v_sub_f32_e32 v26, v29, v28
	v_fmac_f32_e32 v28, s8, v26
	v_fma_f32 v26, -v24, v26, v29
	v_cndmask_b32_e64 v26, v26, v28, s[0:1]
	v_cvt_f16_f32_e32 v28, v26
	v_lshl_add_u64 v[26:27], v[20:21], 0, s[10:11]
	global_store_short v[26:27], v28, off
	s_or_b64 exec, exec, s[22:23]
	s_and_saveexec_b64 s[2:3], s[4:5]
	s_cbranch_execz .LBB22_19
.LBB22_23:                              ;   in Loop: Header=BB22_9 Depth=1
	v_sub_f32_e32 v26, v25, v30
	v_fmac_f32_e32 v30, s8, v26
	v_fma_f32 v25, -v24, v26, v25
	v_cndmask_b32_e64 v25, v25, v30, s[0:1]
	v_cvt_f16_f32_e32 v25, v25
	v_lshl_add_u64 v[26:27], v[12:13], 0, s[10:11]
	global_store_short v[26:27], v25, off
	s_or_b64 exec, exec, s[2:3]
	s_and_saveexec_b64 s[2:3], s[6:7]
	s_cbranch_execz .LBB22_8
.LBB22_24:                              ;   in Loop: Header=BB22_9 Depth=1
	v_sub_f32_e32 v25, v31, v32
	v_fmac_f32_e32 v32, s8, v25
	v_fma_f32 v25, -v24, v25, v31
	v_cndmask_b32_e64 v25, v25, v32, s[0:1]
	v_cvt_f16_f32_e32 v25, v25
	v_lshl_add_u64 v[26:27], v[6:7], 0, s[10:11]
	global_store_short v[26:27], v25, off
	s_branch .LBB22_8
.LBB22_25:
	s_endpgm
	.section	.rodata,"a",@progbits
	.p2align	6, 0x0
	.amdhsa_kernel _ZN2at6native12_GLOBAL__N_125multi_tensor_apply_kernelINS1_18TensorListMetadataILi2EEENS1_22TernaryOpScalarFunctorIN3c104HalfELi2ELi2ELi0EEEJNS0_11LerpFunctorIfEEfEEEvT_T0_DpT1_
		.amdhsa_group_segment_fixed_size 0
		.amdhsa_private_segment_fixed_size 0
		.amdhsa_kernarg_size 3408
		.amdhsa_user_sgpr_count 2
		.amdhsa_user_sgpr_dispatch_ptr 0
		.amdhsa_user_sgpr_queue_ptr 0
		.amdhsa_user_sgpr_kernarg_segment_ptr 1
		.amdhsa_user_sgpr_dispatch_id 0
		.amdhsa_user_sgpr_kernarg_preload_length 0
		.amdhsa_user_sgpr_kernarg_preload_offset 0
		.amdhsa_user_sgpr_private_segment_size 0
		.amdhsa_uses_dynamic_stack 0
		.amdhsa_enable_private_segment 0
		.amdhsa_system_sgpr_workgroup_id_x 1
		.amdhsa_system_sgpr_workgroup_id_y 0
		.amdhsa_system_sgpr_workgroup_id_z 0
		.amdhsa_system_sgpr_workgroup_info 0
		.amdhsa_system_vgpr_workitem_id 0
		.amdhsa_next_free_vgpr 37
		.amdhsa_next_free_sgpr 26
		.amdhsa_accum_offset 40
		.amdhsa_reserve_vcc 1
		.amdhsa_float_round_mode_32 0
		.amdhsa_float_round_mode_16_64 0
		.amdhsa_float_denorm_mode_32 3
		.amdhsa_float_denorm_mode_16_64 3
		.amdhsa_dx10_clamp 1
		.amdhsa_ieee_mode 1
		.amdhsa_fp16_overflow 0
		.amdhsa_tg_split 0
		.amdhsa_exception_fp_ieee_invalid_op 0
		.amdhsa_exception_fp_denorm_src 0
		.amdhsa_exception_fp_ieee_div_zero 0
		.amdhsa_exception_fp_ieee_overflow 0
		.amdhsa_exception_fp_ieee_underflow 0
		.amdhsa_exception_fp_ieee_inexact 0
		.amdhsa_exception_int_div_zero 0
	.end_amdhsa_kernel
	.section	.text._ZN2at6native12_GLOBAL__N_125multi_tensor_apply_kernelINS1_18TensorListMetadataILi2EEENS1_22TernaryOpScalarFunctorIN3c104HalfELi2ELi2ELi0EEEJNS0_11LerpFunctorIfEEfEEEvT_T0_DpT1_,"axG",@progbits,_ZN2at6native12_GLOBAL__N_125multi_tensor_apply_kernelINS1_18TensorListMetadataILi2EEENS1_22TernaryOpScalarFunctorIN3c104HalfELi2ELi2ELi0EEEJNS0_11LerpFunctorIfEEfEEEvT_T0_DpT1_,comdat
.Lfunc_end22:
	.size	_ZN2at6native12_GLOBAL__N_125multi_tensor_apply_kernelINS1_18TensorListMetadataILi2EEENS1_22TernaryOpScalarFunctorIN3c104HalfELi2ELi2ELi0EEEJNS0_11LerpFunctorIfEEfEEEvT_T0_DpT1_, .Lfunc_end22-_ZN2at6native12_GLOBAL__N_125multi_tensor_apply_kernelINS1_18TensorListMetadataILi2EEENS1_22TernaryOpScalarFunctorIN3c104HalfELi2ELi2ELi0EEEJNS0_11LerpFunctorIfEEfEEEvT_T0_DpT1_
                                        ; -- End function
	.set _ZN2at6native12_GLOBAL__N_125multi_tensor_apply_kernelINS1_18TensorListMetadataILi2EEENS1_22TernaryOpScalarFunctorIN3c104HalfELi2ELi2ELi0EEEJNS0_11LerpFunctorIfEEfEEEvT_T0_DpT1_.num_vgpr, 37
	.set _ZN2at6native12_GLOBAL__N_125multi_tensor_apply_kernelINS1_18TensorListMetadataILi2EEENS1_22TernaryOpScalarFunctorIN3c104HalfELi2ELi2ELi0EEEJNS0_11LerpFunctorIfEEfEEEvT_T0_DpT1_.num_agpr, 0
	.set _ZN2at6native12_GLOBAL__N_125multi_tensor_apply_kernelINS1_18TensorListMetadataILi2EEENS1_22TernaryOpScalarFunctorIN3c104HalfELi2ELi2ELi0EEEJNS0_11LerpFunctorIfEEfEEEvT_T0_DpT1_.numbered_sgpr, 26
	.set _ZN2at6native12_GLOBAL__N_125multi_tensor_apply_kernelINS1_18TensorListMetadataILi2EEENS1_22TernaryOpScalarFunctorIN3c104HalfELi2ELi2ELi0EEEJNS0_11LerpFunctorIfEEfEEEvT_T0_DpT1_.num_named_barrier, 0
	.set _ZN2at6native12_GLOBAL__N_125multi_tensor_apply_kernelINS1_18TensorListMetadataILi2EEENS1_22TernaryOpScalarFunctorIN3c104HalfELi2ELi2ELi0EEEJNS0_11LerpFunctorIfEEfEEEvT_T0_DpT1_.private_seg_size, 0
	.set _ZN2at6native12_GLOBAL__N_125multi_tensor_apply_kernelINS1_18TensorListMetadataILi2EEENS1_22TernaryOpScalarFunctorIN3c104HalfELi2ELi2ELi0EEEJNS0_11LerpFunctorIfEEfEEEvT_T0_DpT1_.uses_vcc, 1
	.set _ZN2at6native12_GLOBAL__N_125multi_tensor_apply_kernelINS1_18TensorListMetadataILi2EEENS1_22TernaryOpScalarFunctorIN3c104HalfELi2ELi2ELi0EEEJNS0_11LerpFunctorIfEEfEEEvT_T0_DpT1_.uses_flat_scratch, 0
	.set _ZN2at6native12_GLOBAL__N_125multi_tensor_apply_kernelINS1_18TensorListMetadataILi2EEENS1_22TernaryOpScalarFunctorIN3c104HalfELi2ELi2ELi0EEEJNS0_11LerpFunctorIfEEfEEEvT_T0_DpT1_.has_dyn_sized_stack, 0
	.set _ZN2at6native12_GLOBAL__N_125multi_tensor_apply_kernelINS1_18TensorListMetadataILi2EEENS1_22TernaryOpScalarFunctorIN3c104HalfELi2ELi2ELi0EEEJNS0_11LerpFunctorIfEEfEEEvT_T0_DpT1_.has_recursion, 0
	.set _ZN2at6native12_GLOBAL__N_125multi_tensor_apply_kernelINS1_18TensorListMetadataILi2EEENS1_22TernaryOpScalarFunctorIN3c104HalfELi2ELi2ELi0EEEJNS0_11LerpFunctorIfEEfEEEvT_T0_DpT1_.has_indirect_call, 0
	.section	.AMDGPU.csdata,"",@progbits
; Kernel info:
; codeLenInByte = 1516
; TotalNumSgprs: 32
; NumVgprs: 37
; NumAgprs: 0
; TotalNumVgprs: 37
; ScratchSize: 0
; MemoryBound: 0
; FloatMode: 240
; IeeeMode: 1
; LDSByteSize: 0 bytes/workgroup (compile time only)
; SGPRBlocks: 3
; VGPRBlocks: 4
; NumSGPRsForWavesPerEU: 32
; NumVGPRsForWavesPerEU: 37
; AccumOffset: 40
; Occupancy: 8
; WaveLimiterHint : 0
; COMPUTE_PGM_RSRC2:SCRATCH_EN: 0
; COMPUTE_PGM_RSRC2:USER_SGPR: 2
; COMPUTE_PGM_RSRC2:TRAP_HANDLER: 0
; COMPUTE_PGM_RSRC2:TGID_X_EN: 1
; COMPUTE_PGM_RSRC2:TGID_Y_EN: 0
; COMPUTE_PGM_RSRC2:TGID_Z_EN: 0
; COMPUTE_PGM_RSRC2:TIDIG_COMP_CNT: 0
; COMPUTE_PGM_RSRC3_GFX90A:ACCUM_OFFSET: 9
; COMPUTE_PGM_RSRC3_GFX90A:TG_SPLIT: 0
	.section	.text._ZN2at6native12_GLOBAL__N_125multi_tensor_apply_kernelINS1_18TensorListMetadataILi2EEENS1_22TernaryOpScalarFunctorIN3c108BFloat16ELi2ELi2ELi0EEEJNS0_11LerpFunctorIfEEfEEEvT_T0_DpT1_,"axG",@progbits,_ZN2at6native12_GLOBAL__N_125multi_tensor_apply_kernelINS1_18TensorListMetadataILi2EEENS1_22TernaryOpScalarFunctorIN3c108BFloat16ELi2ELi2ELi0EEEJNS0_11LerpFunctorIfEEfEEEvT_T0_DpT1_,comdat
	.globl	_ZN2at6native12_GLOBAL__N_125multi_tensor_apply_kernelINS1_18TensorListMetadataILi2EEENS1_22TernaryOpScalarFunctorIN3c108BFloat16ELi2ELi2ELi0EEEJNS0_11LerpFunctorIfEEfEEEvT_T0_DpT1_ ; -- Begin function _ZN2at6native12_GLOBAL__N_125multi_tensor_apply_kernelINS1_18TensorListMetadataILi2EEENS1_22TernaryOpScalarFunctorIN3c108BFloat16ELi2ELi2ELi0EEEJNS0_11LerpFunctorIfEEfEEEvT_T0_DpT1_
	.p2align	8
	.type	_ZN2at6native12_GLOBAL__N_125multi_tensor_apply_kernelINS1_18TensorListMetadataILi2EEENS1_22TernaryOpScalarFunctorIN3c108BFloat16ELi2ELi2ELi0EEEJNS0_11LerpFunctorIfEEfEEEvT_T0_DpT1_,@function
_ZN2at6native12_GLOBAL__N_125multi_tensor_apply_kernelINS1_18TensorListMetadataILi2EEENS1_22TernaryOpScalarFunctorIN3c108BFloat16ELi2ELi2ELi0EEEJNS0_11LerpFunctorIfEEfEEEvT_T0_DpT1_: ; @_ZN2at6native12_GLOBAL__N_125multi_tensor_apply_kernelINS1_18TensorListMetadataILi2EEENS1_22TernaryOpScalarFunctorIN3c108BFloat16ELi2ELi2ELi0EEEJNS0_11LerpFunctorIfEEfEEEvT_T0_DpT1_
; %bb.0:
	v_mov_b32_e32 v1, s2
	global_load_ubyte v1, v1, s[0:1] offset:1536
	s_add_u32 s4, s0, s2
	s_mul_hi_u32 s7, s2, 3
	s_mul_i32 s2, s2, 3
	s_addc_u32 s8, s1, 0
	s_add_u32 s6, s4, s2
	s_addc_u32 s7, s8, s7
	s_load_dword s6, s[6:7], 0x740
	s_mov_b32 s3, 0
	s_mov_b32 s5, s3
	s_waitcnt lgkmcnt(0)
	s_ashr_i32 s7, s6, 31
	s_lshl_b64 s[8:9], s[6:7], 17
	s_lshl_b64 s[6:7], s[6:7], 16
	s_waitcnt vmcnt(0)
	v_readfirstlane_b32 s2, v1
	s_lshl_b32 s2, s2, 3
	s_load_dword s26, s[0:1], 0xc4c
	s_load_dwordx2 s[10:11], s[0:1], s2 offset:0x400
	s_load_dwordx2 s[18:19], s[0:1], s2 offset:0x0
	;; [unrolled: 1-line block ×3, first 2 shown]
	s_waitcnt lgkmcnt(0)
	s_add_u32 s2, s18, s8
	s_and_b32 s4, s20, 7
	s_and_b32 s2, s2, 7
	s_sub_u32 s14, s10, s6
	s_subb_u32 s15, s11, s7
	s_and_b32 s6, s10, 3
	s_mov_b32 s7, s3
	s_or_b64 s[4:5], s[4:5], s[6:7]
	s_or_b64 s[2:3], s[4:5], s[2:3]
	s_cmp_eq_u64 s[2:3], 0
	s_mov_b64 s[2:3], -1
	s_cbranch_scc0 .LBB23_5
; %bb.1:
	v_mov_b64_e32 v[4:5], 0x10000
	v_cmp_lt_i64_e32 vcc, s[14:15], v[4:5]
	s_and_b64 s[2:3], vcc, exec
	v_mov_b32_e32 v3, 0
	s_cselect_b32 s11, s15, 0
	s_cselect_b32 s10, s14, 0x10000
	v_lshlrev_b32_e32 v2, 2, v0
	v_cmp_gt_i64_e32 vcc, s[10:11], v[2:3]
	s_and_saveexec_b64 s[12:13], vcc
	s_cbranch_execz .LBB23_4
; %bb.2:
	s_load_dword s2, s[0:1], 0xc5c
	v_mov_b32_e32 v1, v3
	s_mov_b32 s17, 0
	v_lshlrev_b32_e32 v2, 3, v0
	v_cmp_lt_f32_e64 vcc, |s26|, 0.5
	s_waitcnt lgkmcnt(0)
	s_and_b32 s16, s2, 0xffff
	v_sub_f32_e64 v6, 1.0, s26
	v_lshl_add_u64 v[2:3], s[8:9], 0, v[2:3]
	s_lshl_b32 s22, s16, 3
	s_mov_b32 s23, s17
	s_mov_b64 s[24:25], 0
	s_movk_i32 s27, 0x7fff
	v_mov_b32_e32 v7, 0x7fc0
	v_mov_b32_e32 v8, 0x7fc00000
	v_mov_b64_e32 v[4:5], v[0:1]
.LBB23_3:                               ; =>This Inner Loop Header: Depth=1
	v_lshl_add_u64 v[10:11], s[18:19], 0, v[2:3]
	v_lshl_add_u64 v[12:13], s[20:21], 0, v[2:3]
	global_load_dwordx2 v[14:15], v[10:11], off
	global_load_dwordx2 v[16:17], v[12:13], off
	v_lshl_add_u64 v[4:5], v[4:5], 0, s[16:17]
	v_lshlrev_b64 v[12:13], 2, v[4:5]
	v_cmp_le_i64_e64 s[2:3], s[10:11], v[12:13]
	s_or_b64 s[24:25], s[2:3], s[24:25]
	v_lshl_add_u64 v[2:3], v[2:3], 0, s[22:23]
	s_waitcnt vmcnt(1)
	v_lshlrev_b32_e32 v1, 16, v14
	s_waitcnt vmcnt(0)
	v_lshlrev_b32_e32 v9, 16, v16
	v_and_b32_e32 v12, 0xffff0000, v14
	v_and_b32_e32 v13, 0xffff0000, v16
	v_alignbit_b32 v14, v15, v14, 16
	v_alignbit_b32 v16, v17, v16, 16
	v_and_b32_e32 v15, 0xffff0000, v15
	v_and_b32_e32 v17, 0xffff0000, v17
	v_sub_f32_e32 v18, v9, v1
	v_sub_f32_e32 v19, v13, v12
	v_and_b32_e32 v14, 0xffff0000, v14
	v_and_b32_e32 v16, 0xffff0000, v16
	v_sub_f32_e32 v20, v17, v15
	v_fmac_f32_e32 v1, s26, v18
	v_fma_f32 v9, -v6, v18, v9
	v_fmac_f32_e32 v12, s26, v19
	v_fma_f32 v13, -v6, v19, v13
	v_sub_f32_e32 v18, v16, v14
	v_fmac_f32_e32 v15, s26, v20
	v_fma_f32 v17, -v6, v20, v17
	v_cndmask_b32_e32 v1, v9, v1, vcc
	v_cndmask_b32_e32 v9, v13, v12, vcc
	v_fmac_f32_e32 v14, s26, v18
	v_fma_f32 v12, -v6, v18, v16
	v_cndmask_b32_e32 v13, v17, v15, vcc
	v_bfe_u32 v15, v1, 16, 1
	v_bfe_u32 v16, v9, 16, 1
	v_cndmask_b32_e32 v12, v12, v14, vcc
	v_bfe_u32 v14, v13, 16, 1
	v_add3_u32 v15, v1, v15, s27
	v_add3_u32 v16, v9, v16, s27
	v_bfe_u32 v17, v12, 16, 1
	v_add3_u32 v14, v13, v14, s27
	v_lshrrev_b32_e32 v15, 16, v15
	v_and_b32_e32 v16, 0xffff0000, v16
	v_cmp_o_f32_e64 s[2:3], v9, v9
	v_add3_u32 v9, v12, v17, s27
	v_cmp_o_f32_e64 s[6:7], v1, v1
	v_and_b32_e32 v14, 0xffff0000, v14
	v_cmp_o_f32_e64 s[4:5], v13, v13
	v_cndmask_b32_e64 v1, v7, v15, s[6:7]
	v_cndmask_b32_e64 v13, v8, v16, s[2:3]
	v_lshrrev_b32_e32 v9, 16, v9
	v_cmp_o_f32_e64 s[2:3], v12, v12
	v_cndmask_b32_e64 v12, v8, v14, s[4:5]
	v_or_b32_e32 v1, v1, v13
	v_cndmask_b32_e64 v9, v7, v9, s[2:3]
	v_or3_b32 v13, 0, v9, v12
	v_or3_b32 v12, v1, 0, 0
	global_store_dwordx2 v[10:11], v[12:13], off
	s_andn2_b64 exec, exec, s[24:25]
	s_cbranch_execnz .LBB23_3
.LBB23_4:
	s_or_b64 exec, exec, s[12:13]
	s_mov_b64 s[2:3], 0
.LBB23_5:
	s_andn2_b64 vcc, exec, s[2:3]
	s_cbranch_vccnz .LBB23_25
; %bb.6:
	v_cmp_lt_i64_e64 s[2:3], s[14:15], 1
	s_and_b64 vcc, exec, s[2:3]
	s_cbranch_vccnz .LBB23_25
; %bb.7:
	s_load_dword s0, s[0:1], 0xc5c
	v_mov_b64_e32 v[4:5], 0x10000
	v_cmp_lt_i64_e32 vcc, s[14:15], v[4:5]
	s_and_b64 s[2:3], vcc, exec
	s_mov_b32 s11, 0
	s_cselect_b32 s13, s15, 0
	s_cselect_b32 s12, s14, 0x10000
	v_mov_b32_e32 v2, 0
	s_waitcnt lgkmcnt(0)
	s_and_b32 s2, s0, 0xffff
	v_cmp_lt_u64_e32 vcc, s[14:15], v[4:5]
	v_mov_b32_e32 v1, v2
	s_and_b64 s[0:1], vcc, exec
	s_mov_b32 s3, s11
	s_cselect_b32 s15, s15, 0
	s_cselect_b32 s14, s14, 0x10000
	s_lshl_b32 s10, s2, 2
	v_lshlrev_b32_e32 v14, 1, v0
	v_mov_b32_e32 v15, v2
	v_lshl_add_u64 v[20:21], v[0:1], 0, s[2:3]
	s_lshl_b32 s4, s2, 1
	s_mov_b32 s5, s11
	s_mul_i32 s6, s2, 3
	s_mov_b32 s7, s11
	v_mad_u64_u32 v[10:11], s[22:23], s2, 6, v[14:15]
	v_lshl_add_u64 v[16:17], s[10:11], 0, v[14:15]
	v_lshlrev_b32_e32 v24, 1, v20
	v_mov_b32_e32 v25, v2
	v_cmp_lt_f32_e64 s[0:1], |s26|, 0.5
	v_sub_f32_e64 v30, 1.0, s26
	v_lshl_add_u64 v[4:5], s[18:19], 0, v[14:15]
	s_lshl_b32 s16, s2, 3
	s_mov_b32 s17, s11
	v_lshl_add_u64 v[6:7], s[20:21], 0, v[14:15]
	v_lshl_add_u64 v[8:9], s[18:19], 0, v[10:11]
	;; [unrolled: 1-line block ×9, first 2 shown]
	s_mov_b64 s[18:19], 0
	s_movk_i32 s22, 0x7fff
	v_mov_b32_e32 v31, 0x7fc0
	s_branch .LBB23_9
.LBB23_8:                               ;   in Loop: Header=BB23_9 Depth=1
	s_or_b64 exec, exec, s[2:3]
	s_add_u32 s18, s18, s10
	s_addc_u32 s19, s19, 0
	v_mov_b64_e32 v[26:27], s[12:13]
	v_cmp_ge_i64_e32 vcc, s[18:19], v[26:27]
	v_lshl_add_u64 v[4:5], v[4:5], 0, s[16:17]
	v_lshl_add_u64 v[6:7], v[6:7], 0, s[16:17]
	;; [unrolled: 1-line block ×8, first 2 shown]
	s_cbranch_vccnz .LBB23_25
.LBB23_9:                               ; =>This Inner Loop Header: Depth=1
	v_lshl_add_u64 v[26:27], v[0:1], 0, s[18:19]
	v_cmp_gt_u64_e32 vcc, s[14:15], v[26:27]
	v_mov_b64_e32 v[26:27], 0
	v_mov_b64_e32 v[28:29], 0
	s_and_saveexec_b64 s[2:3], vcc
	s_cbranch_execz .LBB23_11
; %bb.10:                               ;   in Loop: Header=BB23_9 Depth=1
	v_lshl_add_u64 v[28:29], v[4:5], 0, s[8:9]
	v_lshl_add_u64 v[26:27], v[6:7], 0, s[8:9]
	global_load_ushort v3, v[28:29], off
	global_load_ushort v32, v[26:27], off
	v_mov_b32_e32 v29, s11
	v_mov_b32_e32 v27, s11
	s_waitcnt vmcnt(1)
	v_and_b32_e32 v28, 0xffff, v3
	s_waitcnt vmcnt(0)
	v_and_b32_e32 v26, 0xffff, v32
.LBB23_11:                              ;   in Loop: Header=BB23_9 Depth=1
	s_or_b64 exec, exec, s[2:3]
	v_lshl_add_u64 v[32:33], v[20:21], 0, s[18:19]
	v_cmp_gt_u64_e64 s[2:3], s[14:15], v[32:33]
	s_and_saveexec_b64 s[4:5], s[2:3]
	s_cbranch_execz .LBB23_13
; %bb.12:                               ;   in Loop: Header=BB23_9 Depth=1
	v_lshl_add_u64 v[32:33], v[22:23], 0, s[8:9]
	global_load_ushort v3, v[32:33], off
	v_lshl_add_u64 v[32:33], v[24:25], 0, s[8:9]
	global_load_ushort v32, v[32:33], off
	s_waitcnt vmcnt(1)
	v_lshl_or_b32 v28, v3, 16, v28
	s_waitcnt vmcnt(0)
	v_lshl_or_b32 v26, v32, 16, v26
.LBB23_13:                              ;   in Loop: Header=BB23_9 Depth=1
	s_or_b64 exec, exec, s[4:5]
	v_lshl_add_u64 v[32:33], v[18:19], 0, s[18:19]
	v_cmp_gt_u64_e64 s[4:5], s[14:15], v[32:33]
	v_cmp_le_u64_e64 s[6:7], s[14:15], v[32:33]
	s_and_saveexec_b64 s[20:21], s[6:7]
	s_xor_b64 s[6:7], exec, s[20:21]
	s_andn2_saveexec_b64 s[6:7], s[6:7]
	s_cbranch_execz .LBB23_15
; %bb.14:                               ;   in Loop: Header=BB23_9 Depth=1
	v_lshl_add_u64 v[32:33], v[14:15], 0, s[8:9]
	global_load_ushort v3, v[32:33], off
	v_lshl_add_u64 v[32:33], v[16:17], 0, s[8:9]
	global_load_ushort v32, v[32:33], off
	s_waitcnt vmcnt(1)
	v_or_b32_e32 v29, v3, v29
	s_waitcnt vmcnt(0)
	v_or_b32_e32 v27, v32, v27
.LBB23_15:                              ;   in Loop: Header=BB23_9 Depth=1
	s_or_b64 exec, exec, s[6:7]
	v_lshl_add_u64 v[32:33], v[12:13], 0, s[18:19]
	v_cmp_gt_u64_e64 s[6:7], s[14:15], v[32:33]
	s_and_saveexec_b64 s[20:21], s[6:7]
	s_cbranch_execnz .LBB23_20
; %bb.16:                               ;   in Loop: Header=BB23_9 Depth=1
	s_or_b64 exec, exec, s[20:21]
	s_and_saveexec_b64 s[20:21], vcc
	s_cbranch_execnz .LBB23_21
.LBB23_17:                              ;   in Loop: Header=BB23_9 Depth=1
	s_or_b64 exec, exec, s[20:21]
	s_and_saveexec_b64 s[20:21], s[2:3]
	s_cbranch_execnz .LBB23_22
.LBB23_18:                              ;   in Loop: Header=BB23_9 Depth=1
	s_or_b64 exec, exec, s[20:21]
	s_and_saveexec_b64 s[2:3], s[4:5]
	s_cbranch_execnz .LBB23_23
.LBB23_19:                              ;   in Loop: Header=BB23_9 Depth=1
	s_or_b64 exec, exec, s[2:3]
	s_and_saveexec_b64 s[2:3], s[6:7]
	s_cbranch_execz .LBB23_8
	s_branch .LBB23_24
.LBB23_20:                              ;   in Loop: Header=BB23_9 Depth=1
	v_lshl_add_u64 v[32:33], v[8:9], 0, s[8:9]
	global_load_ushort v3, v[32:33], off
	v_lshl_add_u64 v[32:33], v[10:11], 0, s[8:9]
	global_load_ushort v32, v[32:33], off
	s_waitcnt vmcnt(1)
	v_lshlrev_b32_e32 v33, 16, v3
	v_or_b32_e32 v29, v33, v29
	s_waitcnt vmcnt(0)
	v_lshlrev_b32_e32 v3, 16, v32
	v_lshl_add_u64 v[26:27], v[2:3], 0, v[26:27]
	s_or_b64 exec, exec, s[20:21]
	s_and_saveexec_b64 s[20:21], vcc
	s_cbranch_execz .LBB23_17
.LBB23_21:                              ;   in Loop: Header=BB23_9 Depth=1
	v_lshlrev_b32_e32 v3, 16, v26
	v_lshlrev_b32_e32 v32, 16, v28
	v_sub_f32_e32 v33, v3, v32
	v_fmac_f32_e32 v32, s26, v33
	v_fma_f32 v3, -v30, v33, v3
	v_cndmask_b32_e64 v3, v3, v32, s[0:1]
	v_bfe_u32 v32, v3, 16, 1
	v_add3_u32 v34, v3, v32, s22
	v_cmp_o_f32_e32 vcc, v3, v3
	v_lshl_add_u64 v[32:33], v[4:5], 0, s[8:9]
	s_nop 0
	v_cndmask_b32_sdwa v3, v31, v34, vcc dst_sel:DWORD dst_unused:UNUSED_PAD src0_sel:DWORD src1_sel:WORD_1
	global_store_short v[32:33], v3, off
	s_or_b64 exec, exec, s[20:21]
	s_and_saveexec_b64 s[20:21], s[2:3]
	s_cbranch_execz .LBB23_18
.LBB23_22:                              ;   in Loop: Header=BB23_9 Depth=1
	v_and_b32_e32 v3, 0xffff0000, v28
	v_and_b32_e32 v32, 0xffff0000, v26
	v_sub_f32_e32 v33, v32, v3
	v_fmac_f32_e32 v3, s26, v33
	v_fma_f32 v32, -v30, v33, v32
	v_cndmask_b32_e64 v3, v32, v3, s[0:1]
	v_bfe_u32 v32, v3, 16, 1
	v_add3_u32 v32, v3, v32, s22
	v_cmp_o_f32_e32 vcc, v3, v3
	s_nop 1
	v_cndmask_b32_sdwa v3, v31, v32, vcc dst_sel:DWORD dst_unused:UNUSED_PAD src0_sel:DWORD src1_sel:WORD_1
	v_lshl_add_u64 v[32:33], v[22:23], 0, s[8:9]
	global_store_short v[32:33], v3, off
	s_or_b64 exec, exec, s[20:21]
	s_and_saveexec_b64 s[2:3], s[4:5]
	s_cbranch_execz .LBB23_19
.LBB23_23:                              ;   in Loop: Header=BB23_9 Depth=1
	v_alignbit_b32 v3, v29, v28, 16
	v_alignbit_b32 v26, v27, v26, 16
	v_and_b32_e32 v3, 0xffff0000, v3
	v_and_b32_e32 v26, 0xffff0000, v26
	v_sub_f32_e32 v28, v26, v3
	v_fmac_f32_e32 v3, s26, v28
	v_fma_f32 v26, -v30, v28, v26
	v_cndmask_b32_e64 v3, v26, v3, s[0:1]
	v_bfe_u32 v26, v3, 16, 1
	v_add3_u32 v26, v3, v26, s22
	v_cmp_o_f32_e32 vcc, v3, v3
	v_lshl_add_u64 v[32:33], v[14:15], 0, s[8:9]
	s_nop 0
	v_cndmask_b32_sdwa v3, v31, v26, vcc dst_sel:DWORD dst_unused:UNUSED_PAD src0_sel:DWORD src1_sel:WORD_1
	global_store_short v[32:33], v3, off
	s_or_b64 exec, exec, s[2:3]
	s_and_saveexec_b64 s[2:3], s[6:7]
	s_cbranch_execz .LBB23_8
.LBB23_24:                              ;   in Loop: Header=BB23_9 Depth=1
	v_and_b32_e32 v3, 0xffff0000, v29
	v_and_b32_e32 v26, 0xffff0000, v27
	v_sub_f32_e32 v27, v26, v3
	v_fmac_f32_e32 v3, s26, v27
	v_fma_f32 v26, -v30, v27, v26
	v_cndmask_b32_e64 v3, v26, v3, s[0:1]
	v_bfe_u32 v26, v3, 16, 1
	v_add3_u32 v26, v3, v26, s22
	v_cmp_o_f32_e32 vcc, v3, v3
	s_nop 1
	v_cndmask_b32_sdwa v3, v31, v26, vcc dst_sel:DWORD dst_unused:UNUSED_PAD src0_sel:DWORD src1_sel:WORD_1
	v_lshl_add_u64 v[26:27], v[8:9], 0, s[8:9]
	global_store_short v[26:27], v3, off
	s_branch .LBB23_8
.LBB23_25:
	s_endpgm
	.section	.rodata,"a",@progbits
	.p2align	6, 0x0
	.amdhsa_kernel _ZN2at6native12_GLOBAL__N_125multi_tensor_apply_kernelINS1_18TensorListMetadataILi2EEENS1_22TernaryOpScalarFunctorIN3c108BFloat16ELi2ELi2ELi0EEEJNS0_11LerpFunctorIfEEfEEEvT_T0_DpT1_
		.amdhsa_group_segment_fixed_size 0
		.amdhsa_private_segment_fixed_size 0
		.amdhsa_kernarg_size 3408
		.amdhsa_user_sgpr_count 2
		.amdhsa_user_sgpr_dispatch_ptr 0
		.amdhsa_user_sgpr_queue_ptr 0
		.amdhsa_user_sgpr_kernarg_segment_ptr 1
		.amdhsa_user_sgpr_dispatch_id 0
		.amdhsa_user_sgpr_kernarg_preload_length 0
		.amdhsa_user_sgpr_kernarg_preload_offset 0
		.amdhsa_user_sgpr_private_segment_size 0
		.amdhsa_uses_dynamic_stack 0
		.amdhsa_enable_private_segment 0
		.amdhsa_system_sgpr_workgroup_id_x 1
		.amdhsa_system_sgpr_workgroup_id_y 0
		.amdhsa_system_sgpr_workgroup_id_z 0
		.amdhsa_system_sgpr_workgroup_info 0
		.amdhsa_system_vgpr_workitem_id 0
		.amdhsa_next_free_vgpr 35
		.amdhsa_next_free_sgpr 28
		.amdhsa_accum_offset 36
		.amdhsa_reserve_vcc 1
		.amdhsa_float_round_mode_32 0
		.amdhsa_float_round_mode_16_64 0
		.amdhsa_float_denorm_mode_32 3
		.amdhsa_float_denorm_mode_16_64 3
		.amdhsa_dx10_clamp 1
		.amdhsa_ieee_mode 1
		.amdhsa_fp16_overflow 0
		.amdhsa_tg_split 0
		.amdhsa_exception_fp_ieee_invalid_op 0
		.amdhsa_exception_fp_denorm_src 0
		.amdhsa_exception_fp_ieee_div_zero 0
		.amdhsa_exception_fp_ieee_overflow 0
		.amdhsa_exception_fp_ieee_underflow 0
		.amdhsa_exception_fp_ieee_inexact 0
		.amdhsa_exception_int_div_zero 0
	.end_amdhsa_kernel
	.section	.text._ZN2at6native12_GLOBAL__N_125multi_tensor_apply_kernelINS1_18TensorListMetadataILi2EEENS1_22TernaryOpScalarFunctorIN3c108BFloat16ELi2ELi2ELi0EEEJNS0_11LerpFunctorIfEEfEEEvT_T0_DpT1_,"axG",@progbits,_ZN2at6native12_GLOBAL__N_125multi_tensor_apply_kernelINS1_18TensorListMetadataILi2EEENS1_22TernaryOpScalarFunctorIN3c108BFloat16ELi2ELi2ELi0EEEJNS0_11LerpFunctorIfEEfEEEvT_T0_DpT1_,comdat
.Lfunc_end23:
	.size	_ZN2at6native12_GLOBAL__N_125multi_tensor_apply_kernelINS1_18TensorListMetadataILi2EEENS1_22TernaryOpScalarFunctorIN3c108BFloat16ELi2ELi2ELi0EEEJNS0_11LerpFunctorIfEEfEEEvT_T0_DpT1_, .Lfunc_end23-_ZN2at6native12_GLOBAL__N_125multi_tensor_apply_kernelINS1_18TensorListMetadataILi2EEENS1_22TernaryOpScalarFunctorIN3c108BFloat16ELi2ELi2ELi0EEEJNS0_11LerpFunctorIfEEfEEEvT_T0_DpT1_
                                        ; -- End function
	.set _ZN2at6native12_GLOBAL__N_125multi_tensor_apply_kernelINS1_18TensorListMetadataILi2EEENS1_22TernaryOpScalarFunctorIN3c108BFloat16ELi2ELi2ELi0EEEJNS0_11LerpFunctorIfEEfEEEvT_T0_DpT1_.num_vgpr, 35
	.set _ZN2at6native12_GLOBAL__N_125multi_tensor_apply_kernelINS1_18TensorListMetadataILi2EEENS1_22TernaryOpScalarFunctorIN3c108BFloat16ELi2ELi2ELi0EEEJNS0_11LerpFunctorIfEEfEEEvT_T0_DpT1_.num_agpr, 0
	.set _ZN2at6native12_GLOBAL__N_125multi_tensor_apply_kernelINS1_18TensorListMetadataILi2EEENS1_22TernaryOpScalarFunctorIN3c108BFloat16ELi2ELi2ELi0EEEJNS0_11LerpFunctorIfEEfEEEvT_T0_DpT1_.numbered_sgpr, 28
	.set _ZN2at6native12_GLOBAL__N_125multi_tensor_apply_kernelINS1_18TensorListMetadataILi2EEENS1_22TernaryOpScalarFunctorIN3c108BFloat16ELi2ELi2ELi0EEEJNS0_11LerpFunctorIfEEfEEEvT_T0_DpT1_.num_named_barrier, 0
	.set _ZN2at6native12_GLOBAL__N_125multi_tensor_apply_kernelINS1_18TensorListMetadataILi2EEENS1_22TernaryOpScalarFunctorIN3c108BFloat16ELi2ELi2ELi0EEEJNS0_11LerpFunctorIfEEfEEEvT_T0_DpT1_.private_seg_size, 0
	.set _ZN2at6native12_GLOBAL__N_125multi_tensor_apply_kernelINS1_18TensorListMetadataILi2EEENS1_22TernaryOpScalarFunctorIN3c108BFloat16ELi2ELi2ELi0EEEJNS0_11LerpFunctorIfEEfEEEvT_T0_DpT1_.uses_vcc, 1
	.set _ZN2at6native12_GLOBAL__N_125multi_tensor_apply_kernelINS1_18TensorListMetadataILi2EEENS1_22TernaryOpScalarFunctorIN3c108BFloat16ELi2ELi2ELi0EEEJNS0_11LerpFunctorIfEEfEEEvT_T0_DpT1_.uses_flat_scratch, 0
	.set _ZN2at6native12_GLOBAL__N_125multi_tensor_apply_kernelINS1_18TensorListMetadataILi2EEENS1_22TernaryOpScalarFunctorIN3c108BFloat16ELi2ELi2ELi0EEEJNS0_11LerpFunctorIfEEfEEEvT_T0_DpT1_.has_dyn_sized_stack, 0
	.set _ZN2at6native12_GLOBAL__N_125multi_tensor_apply_kernelINS1_18TensorListMetadataILi2EEENS1_22TernaryOpScalarFunctorIN3c108BFloat16ELi2ELi2ELi0EEEJNS0_11LerpFunctorIfEEfEEEvT_T0_DpT1_.has_recursion, 0
	.set _ZN2at6native12_GLOBAL__N_125multi_tensor_apply_kernelINS1_18TensorListMetadataILi2EEENS1_22TernaryOpScalarFunctorIN3c108BFloat16ELi2ELi2ELi0EEEJNS0_11LerpFunctorIfEEfEEEvT_T0_DpT1_.has_indirect_call, 0
	.section	.AMDGPU.csdata,"",@progbits
; Kernel info:
; codeLenInByte = 1932
; TotalNumSgprs: 34
; NumVgprs: 35
; NumAgprs: 0
; TotalNumVgprs: 35
; ScratchSize: 0
; MemoryBound: 0
; FloatMode: 240
; IeeeMode: 1
; LDSByteSize: 0 bytes/workgroup (compile time only)
; SGPRBlocks: 4
; VGPRBlocks: 4
; NumSGPRsForWavesPerEU: 34
; NumVGPRsForWavesPerEU: 35
; AccumOffset: 36
; Occupancy: 8
; WaveLimiterHint : 0
; COMPUTE_PGM_RSRC2:SCRATCH_EN: 0
; COMPUTE_PGM_RSRC2:USER_SGPR: 2
; COMPUTE_PGM_RSRC2:TRAP_HANDLER: 0
; COMPUTE_PGM_RSRC2:TGID_X_EN: 1
; COMPUTE_PGM_RSRC2:TGID_Y_EN: 0
; COMPUTE_PGM_RSRC2:TGID_Z_EN: 0
; COMPUTE_PGM_RSRC2:TIDIG_COMP_CNT: 0
; COMPUTE_PGM_RSRC3_GFX90A:ACCUM_OFFSET: 8
; COMPUTE_PGM_RSRC3_GFX90A:TG_SPLIT: 0
	.section	.text._ZN2at6native12_GLOBAL__N_125multi_tensor_apply_kernelINS1_28TensorListScalarListMetadataIdLi3EEENS1_26TernaryOpScalarListFunctorIdLi3ELi2ELi2EEEJNS0_11LerpFunctorIdEEEEEvT_T0_DpT1_,"axG",@progbits,_ZN2at6native12_GLOBAL__N_125multi_tensor_apply_kernelINS1_28TensorListScalarListMetadataIdLi3EEENS1_26TernaryOpScalarListFunctorIdLi3ELi2ELi2EEEJNS0_11LerpFunctorIdEEEEEvT_T0_DpT1_,comdat
	.globl	_ZN2at6native12_GLOBAL__N_125multi_tensor_apply_kernelINS1_28TensorListScalarListMetadataIdLi3EEENS1_26TernaryOpScalarListFunctorIdLi3ELi2ELi2EEEJNS0_11LerpFunctorIdEEEEEvT_T0_DpT1_ ; -- Begin function _ZN2at6native12_GLOBAL__N_125multi_tensor_apply_kernelINS1_28TensorListScalarListMetadataIdLi3EEENS1_26TernaryOpScalarListFunctorIdLi3ELi2ELi2EEEJNS0_11LerpFunctorIdEEEEEvT_T0_DpT1_
	.p2align	8
	.type	_ZN2at6native12_GLOBAL__N_125multi_tensor_apply_kernelINS1_28TensorListScalarListMetadataIdLi3EEENS1_26TernaryOpScalarListFunctorIdLi3ELi2ELi2EEEJNS0_11LerpFunctorIdEEEEEvT_T0_DpT1_,@function
_ZN2at6native12_GLOBAL__N_125multi_tensor_apply_kernelINS1_28TensorListScalarListMetadataIdLi3EEENS1_26TernaryOpScalarListFunctorIdLi3ELi2ELi2EEEJNS0_11LerpFunctorIdEEEEEvT_T0_DpT1_: ; @_ZN2at6native12_GLOBAL__N_125multi_tensor_apply_kernelINS1_28TensorListScalarListMetadataIdLi3EEENS1_26TernaryOpScalarListFunctorIdLi3ELi2ELi2EEEJNS0_11LerpFunctorIdEEEEEvT_T0_DpT1_
; %bb.0:
	v_mov_b32_e32 v1, s2
	global_load_ubyte v1, v1, s[0:1] offset:1920
	s_add_u32 s4, s0, s2
	s_mul_hi_u32 s5, s2, 3
	s_mul_i32 s2, s2, 3
	s_addc_u32 s6, s1, 0
	s_add_u32 s4, s4, s2
	s_addc_u32 s5, s6, s5
	s_load_dword s16, s[4:5], 0x8c0
	s_mov_b32 s3, 0
	s_mov_b32 s23, s3
	s_waitcnt lgkmcnt(0)
	s_ashr_i32 s17, s16, 31
	s_lshl_b64 s[10:11], s[16:17], 19
	s_waitcnt vmcnt(0)
	v_readfirstlane_b32 s2, v1
	s_lshl_b32 s2, s2, 3
	s_load_dwordx2 s[8:9], s[0:1], s2 offset:0x600
	s_load_dwordx2 s[4:5], s[0:1], s2 offset:0x0
	;; [unrolled: 1-line block ×5, first 2 shown]
	s_waitcnt lgkmcnt(0)
	s_add_u32 s12, s4, s10
	s_addc_u32 s13, s5, s11
	s_and_b32 s2, s12, 31
	s_add_u32 s18, s6, s10
	s_addc_u32 s19, s7, s11
	s_add_u32 s20, s14, s10
	s_addc_u32 s21, s15, s11
	s_or_b32 s22, s20, s18
	s_and_b32 s22, s22, 31
	s_cmp_lg_u32 s22, 0
	s_cselect_b64 s[26:27], -1, 0
	s_lshl_b64 s[16:17], s[16:17], 16
	s_sub_u32 s16, s24, s16
	s_subb_u32 s17, s25, s17
	s_and_b32 s22, s24, 3
	s_or_b64 s[2:3], s[2:3], s[22:23]
	s_cmp_lg_u64 s[2:3], 0
	s_cselect_b64 s[2:3], -1, 0
	s_or_b64 s[2:3], s[26:27], s[2:3]
	s_andn2_b64 vcc, exec, s[2:3]
	s_mov_b64 s[2:3], -1
	s_cbranch_vccz .LBB24_5
; %bb.1:
	v_mov_b64_e32 v[4:5], 0x10000
	v_cmp_lt_i64_e32 vcc, s[16:17], v[4:5]
	s_and_b64 s[2:3], vcc, exec
	v_mov_b32_e32 v3, 0
	s_cselect_b32 s23, s17, 0
	s_cselect_b32 s22, s16, 0x10000
	v_lshlrev_b32_e32 v2, 2, v0
	v_cmp_gt_i64_e32 vcc, s[22:23], v[2:3]
	s_and_saveexec_b64 s[24:25], vcc
	s_cbranch_execz .LBB24_4
; %bb.2:
	s_load_dword s2, s[0:1], 0xdd4
	v_mov_b32_e32 v1, v3
	v_cmp_lt_f64_e64 vcc, |s[8:9]|, 0.5
	v_add_f64 v[4:5], -s[8:9], 1.0
	s_mov_b32 s27, 0
	s_waitcnt lgkmcnt(0)
	s_and_b32 s26, s2, 0xffff
	v_lshlrev_b32_e32 v2, 5, v0
	s_lshl_b32 s30, s26, 5
	s_mov_b64 s[28:29], 0
	v_mov_b64_e32 v[6:7], v[0:1]
.LBB24_3:                               ; =>This Inner Loop Header: Depth=1
	v_lshl_add_u64 v[26:27], s[18:19], 0, v[2:3]
	v_lshl_add_u64 v[24:25], s[12:13], 0, v[2:3]
	global_load_dwordx4 v[8:11], v[26:27], off
	global_load_dwordx4 v[12:15], v[24:25], off
	global_load_dwordx4 v[16:19], v[24:25], off offset:16
	global_load_dwordx4 v[20:23], v[26:27], off offset:16
	v_lshl_add_u64 v[24:25], s[20:21], 0, v[2:3]
	s_add_u32 s20, s20, s30
	s_addc_u32 s21, s21, 0
	v_lshl_add_u64 v[6:7], v[6:7], 0, s[26:27]
	s_add_u32 s12, s12, s30
	v_lshlrev_b64 v[26:27], 2, v[6:7]
	s_addc_u32 s13, s13, 0
	v_cmp_le_i64_e64 s[2:3], s[22:23], v[26:27]
	s_add_u32 s18, s18, s30
	s_addc_u32 s19, s19, 0
	s_or_b64 s[28:29], s[2:3], s[28:29]
	s_waitcnt vmcnt(2)
	v_add_f64 v[26:27], v[8:9], -v[12:13]
	v_add_f64 v[28:29], v[10:11], -v[14:15]
	s_waitcnt vmcnt(0)
	v_add_f64 v[30:31], v[20:21], -v[16:17]
	v_add_f64 v[32:33], v[22:23], -v[18:19]
	v_fmac_f64_e32 v[12:13], s[8:9], v[26:27]
	v_fma_f64 v[8:9], -v[4:5], v[26:27], v[8:9]
	v_fmac_f64_e32 v[14:15], s[8:9], v[28:29]
	v_fma_f64 v[10:11], -v[4:5], v[28:29], v[10:11]
	;; [unrolled: 2-line block ×4, first 2 shown]
	v_cndmask_b32_e32 v9, v9, v13, vcc
	v_cndmask_b32_e32 v8, v8, v12, vcc
	;; [unrolled: 1-line block ×8, first 2 shown]
	global_store_dwordx4 v[24:25], v[8:11], off
	global_store_dwordx4 v[24:25], v[12:15], off offset:16
	s_andn2_b64 exec, exec, s[28:29]
	s_cbranch_execnz .LBB24_3
.LBB24_4:
	s_or_b64 exec, exec, s[24:25]
	s_mov_b64 s[2:3], 0
.LBB24_5:
	s_andn2_b64 vcc, exec, s[2:3]
	s_cbranch_vccnz .LBB24_25
; %bb.6:
	v_cmp_lt_i64_e64 s[2:3], s[16:17], 1
	s_and_b64 vcc, exec, s[2:3]
	s_cbranch_vccnz .LBB24_25
; %bb.7:
	s_load_dword s2, s[0:1], 0xdd4
	v_mov_b64_e32 v[2:3], 0x10000
	v_cmp_lt_i64_e32 vcc, s[16:17], v[2:3]
	s_and_b64 s[0:1], vcc, exec
	s_mov_b32 s3, 0
	s_cselect_b32 s13, s17, 0
	s_cselect_b32 s12, s16, 0x10000
	s_waitcnt lgkmcnt(0)
	s_and_b32 s2, s2, 0xffff
	v_cmp_lt_u64_e32 vcc, s[16:17], v[2:3]
	v_mov_b32_e32 v1, 0
	s_and_b64 s[0:1], vcc, exec
	s_mul_i32 s24, s2, 3
	s_mov_b32 s25, s3
	s_cselect_b32 s17, s17, 0
	s_cselect_b32 s16, s16, 0x10000
	v_lshlrev_b32_e32 v18, 3, v0
	v_mov_b32_e32 v19, v1
	v_lshl_add_u64 v[16:17], s[24:25], 0, v[0:1]
	s_lshl_b32 s24, s2, 4
	v_lshl_add_u64 v[26:27], v[0:1], 0, s[2:3]
	s_lshl_b32 s20, s2, 1
	s_mov_b32 s21, s3
	v_mad_u64_u32 v[14:15], s[26:27], s2, 24, v[18:19]
	v_lshl_add_u64 v[22:23], s[24:25], 0, v[18:19]
	v_lshlrev_b32_e32 v32, 3, v26
	v_mov_b32_e32 v33, v1
	v_cmp_lt_f64_e64 s[0:1], |s[8:9]|, 0.5
	v_add_f64 v[2:3], -s[8:9], 1.0
	s_lshl_b32 s22, s2, 2
	v_lshl_add_u64 v[4:5], s[4:5], 0, v[18:19]
	s_lshl_b32 s18, s2, 5
	s_mov_b32 s19, s3
	v_lshl_add_u64 v[6:7], s[6:7], 0, v[18:19]
	v_lshl_add_u64 v[8:9], s[14:15], 0, v[18:19]
	;; [unrolled: 1-line block ×12, first 2 shown]
	s_mov_b64 s[14:15], 0
	s_branch .LBB24_9
.LBB24_8:                               ;   in Loop: Header=BB24_9 Depth=1
	s_or_b64 exec, exec, s[2:3]
	s_add_u32 s14, s14, s22
	s_addc_u32 s15, s15, 0
	s_waitcnt vmcnt(0)
	v_mov_b64_e32 v[34:35], s[12:13]
	v_cmp_ge_i64_e32 vcc, s[14:15], v[34:35]
	v_lshl_add_u64 v[4:5], v[4:5], 0, s[18:19]
	v_lshl_add_u64 v[6:7], v[6:7], 0, s[18:19]
	;; [unrolled: 1-line block ×12, first 2 shown]
	s_cbranch_vccnz .LBB24_25
.LBB24_9:                               ; =>This Inner Loop Header: Depth=1
	v_lshl_add_u64 v[34:35], v[0:1], 0, s[14:15]
	v_cmp_gt_u64_e32 vcc, s[16:17], v[34:35]
	v_mov_b64_e32 v[34:35], 0
	v_mov_b64_e32 v[40:41], 0
	;; [unrolled: 1-line block ×3, first 2 shown]
	s_and_saveexec_b64 s[2:3], vcc
	s_cbranch_execz .LBB24_11
; %bb.10:                               ;   in Loop: Header=BB24_9 Depth=1
	v_lshl_add_u64 v[42:43], v[4:5], 0, s[10:11]
	v_lshl_add_u64 v[36:37], v[6:7], 0, s[10:11]
	global_load_dwordx2 v[38:39], v[42:43], off
	global_load_dwordx2 v[40:41], v[36:37], off
.LBB24_11:                              ;   in Loop: Header=BB24_9 Depth=1
	s_or_b64 exec, exec, s[2:3]
	v_lshl_add_u64 v[36:37], v[26:27], 0, s[14:15]
	v_cmp_gt_u64_e64 s[2:3], s[16:17], v[36:37]
	v_mov_b64_e32 v[42:43], 0
	s_and_saveexec_b64 s[4:5], s[2:3]
	s_cbranch_execz .LBB24_13
; %bb.12:                               ;   in Loop: Header=BB24_9 Depth=1
	v_lshl_add_u64 v[44:45], v[28:29], 0, s[10:11]
	v_lshl_add_u64 v[36:37], v[30:31], 0, s[10:11]
	global_load_dwordx2 v[42:43], v[44:45], off
	global_load_dwordx2 v[34:35], v[36:37], off
.LBB24_13:                              ;   in Loop: Header=BB24_9 Depth=1
	s_or_b64 exec, exec, s[4:5]
	v_lshl_add_u64 v[36:37], v[24:25], 0, s[14:15]
	v_cmp_gt_u64_e64 s[4:5], s[16:17], v[36:37]
	v_mov_b64_e32 v[36:37], 0
	v_mov_b64_e32 v[46:47], 0
	;; [unrolled: 1-line block ×3, first 2 shown]
	s_and_saveexec_b64 s[6:7], s[4:5]
	s_cbranch_execz .LBB24_15
; %bb.14:                               ;   in Loop: Header=BB24_9 Depth=1
	v_lshl_add_u64 v[50:51], v[18:19], 0, s[10:11]
	v_lshl_add_u64 v[48:49], v[20:21], 0, s[10:11]
	global_load_dwordx2 v[44:45], v[50:51], off
	global_load_dwordx2 v[46:47], v[48:49], off
.LBB24_15:                              ;   in Loop: Header=BB24_9 Depth=1
	s_or_b64 exec, exec, s[6:7]
	v_lshl_add_u64 v[48:49], v[16:17], 0, s[14:15]
	v_cmp_gt_u64_e64 s[6:7], s[16:17], v[48:49]
	v_mov_b64_e32 v[48:49], 0
	s_and_saveexec_b64 s[20:21], s[6:7]
	s_cbranch_execnz .LBB24_20
; %bb.16:                               ;   in Loop: Header=BB24_9 Depth=1
	s_or_b64 exec, exec, s[20:21]
	s_and_saveexec_b64 s[20:21], vcc
	s_cbranch_execnz .LBB24_21
.LBB24_17:                              ;   in Loop: Header=BB24_9 Depth=1
	s_or_b64 exec, exec, s[20:21]
	s_and_saveexec_b64 s[20:21], s[2:3]
	s_cbranch_execnz .LBB24_22
.LBB24_18:                              ;   in Loop: Header=BB24_9 Depth=1
	s_or_b64 exec, exec, s[20:21]
	s_and_saveexec_b64 s[2:3], s[4:5]
	s_cbranch_execnz .LBB24_23
.LBB24_19:                              ;   in Loop: Header=BB24_9 Depth=1
	s_or_b64 exec, exec, s[2:3]
	s_and_saveexec_b64 s[2:3], s[6:7]
	s_cbranch_execz .LBB24_8
	s_branch .LBB24_24
.LBB24_20:                              ;   in Loop: Header=BB24_9 Depth=1
	v_lshl_add_u64 v[52:53], v[10:11], 0, s[10:11]
	v_lshl_add_u64 v[50:51], v[12:13], 0, s[10:11]
	global_load_dwordx2 v[48:49], v[52:53], off
	global_load_dwordx2 v[36:37], v[50:51], off
	s_or_b64 exec, exec, s[20:21]
	s_and_saveexec_b64 s[20:21], vcc
	s_cbranch_execz .LBB24_17
.LBB24_21:                              ;   in Loop: Header=BB24_9 Depth=1
	s_waitcnt vmcnt(0)
	v_add_f64 v[52:53], v[40:41], -v[38:39]
	v_fmac_f64_e32 v[38:39], s[8:9], v[52:53]
	v_fma_f64 v[40:41], -v[2:3], v[52:53], v[40:41]
	v_lshl_add_u64 v[50:51], v[8:9], 0, s[10:11]
	v_cndmask_b32_e64 v39, v41, v39, s[0:1]
	v_cndmask_b32_e64 v38, v40, v38, s[0:1]
	global_store_dwordx2 v[50:51], v[38:39], off
	s_or_b64 exec, exec, s[20:21]
	s_and_saveexec_b64 s[20:21], s[2:3]
	s_cbranch_execz .LBB24_18
.LBB24_22:                              ;   in Loop: Header=BB24_9 Depth=1
	s_waitcnt vmcnt(0)
	v_add_f64 v[38:39], v[34:35], -v[42:43]
	v_fmac_f64_e32 v[42:43], s[8:9], v[38:39]
	v_fma_f64 v[34:35], -v[2:3], v[38:39], v[34:35]
	v_cndmask_b32_e64 v35, v35, v43, s[0:1]
	v_cndmask_b32_e64 v34, v34, v42, s[0:1]
	v_lshl_add_u64 v[38:39], v[32:33], 0, s[10:11]
	global_store_dwordx2 v[38:39], v[34:35], off
	s_or_b64 exec, exec, s[20:21]
	s_and_saveexec_b64 s[2:3], s[4:5]
	s_cbranch_execz .LBB24_19
.LBB24_23:                              ;   in Loop: Header=BB24_9 Depth=1
	s_waitcnt vmcnt(0)
	v_add_f64 v[34:35], v[46:47], -v[44:45]
	v_fmac_f64_e32 v[44:45], s[8:9], v[34:35]
	v_fma_f64 v[34:35], -v[2:3], v[34:35], v[46:47]
	v_cndmask_b32_e64 v35, v35, v45, s[0:1]
	v_cndmask_b32_e64 v34, v34, v44, s[0:1]
	v_lshl_add_u64 v[38:39], v[22:23], 0, s[10:11]
	global_store_dwordx2 v[38:39], v[34:35], off
	s_or_b64 exec, exec, s[2:3]
	s_and_saveexec_b64 s[2:3], s[6:7]
	s_cbranch_execz .LBB24_8
.LBB24_24:                              ;   in Loop: Header=BB24_9 Depth=1
	s_waitcnt vmcnt(0)
	v_add_f64 v[34:35], v[36:37], -v[48:49]
	v_fmac_f64_e32 v[48:49], s[8:9], v[34:35]
	v_fma_f64 v[34:35], -v[2:3], v[34:35], v[36:37]
	v_cndmask_b32_e64 v35, v35, v49, s[0:1]
	v_cndmask_b32_e64 v34, v34, v48, s[0:1]
	v_lshl_add_u64 v[36:37], v[14:15], 0, s[10:11]
	global_store_dwordx2 v[36:37], v[34:35], off
	s_branch .LBB24_8
.LBB24_25:
	s_endpgm
	.section	.rodata,"a",@progbits
	.p2align	6, 0x0
	.amdhsa_kernel _ZN2at6native12_GLOBAL__N_125multi_tensor_apply_kernelINS1_28TensorListScalarListMetadataIdLi3EEENS1_26TernaryOpScalarListFunctorIdLi3ELi2ELi2EEEJNS0_11LerpFunctorIdEEEEEvT_T0_DpT1_
		.amdhsa_group_segment_fixed_size 0
		.amdhsa_private_segment_fixed_size 0
		.amdhsa_kernarg_size 3784
		.amdhsa_user_sgpr_count 2
		.amdhsa_user_sgpr_dispatch_ptr 0
		.amdhsa_user_sgpr_queue_ptr 0
		.amdhsa_user_sgpr_kernarg_segment_ptr 1
		.amdhsa_user_sgpr_dispatch_id 0
		.amdhsa_user_sgpr_kernarg_preload_length 0
		.amdhsa_user_sgpr_kernarg_preload_offset 0
		.amdhsa_user_sgpr_private_segment_size 0
		.amdhsa_uses_dynamic_stack 0
		.amdhsa_enable_private_segment 0
		.amdhsa_system_sgpr_workgroup_id_x 1
		.amdhsa_system_sgpr_workgroup_id_y 0
		.amdhsa_system_sgpr_workgroup_id_z 0
		.amdhsa_system_sgpr_workgroup_info 0
		.amdhsa_system_vgpr_workitem_id 0
		.amdhsa_next_free_vgpr 54
		.amdhsa_next_free_sgpr 31
		.amdhsa_accum_offset 56
		.amdhsa_reserve_vcc 1
		.amdhsa_float_round_mode_32 0
		.amdhsa_float_round_mode_16_64 0
		.amdhsa_float_denorm_mode_32 3
		.amdhsa_float_denorm_mode_16_64 3
		.amdhsa_dx10_clamp 1
		.amdhsa_ieee_mode 1
		.amdhsa_fp16_overflow 0
		.amdhsa_tg_split 0
		.amdhsa_exception_fp_ieee_invalid_op 0
		.amdhsa_exception_fp_denorm_src 0
		.amdhsa_exception_fp_ieee_div_zero 0
		.amdhsa_exception_fp_ieee_overflow 0
		.amdhsa_exception_fp_ieee_underflow 0
		.amdhsa_exception_fp_ieee_inexact 0
		.amdhsa_exception_int_div_zero 0
	.end_amdhsa_kernel
	.section	.text._ZN2at6native12_GLOBAL__N_125multi_tensor_apply_kernelINS1_28TensorListScalarListMetadataIdLi3EEENS1_26TernaryOpScalarListFunctorIdLi3ELi2ELi2EEEJNS0_11LerpFunctorIdEEEEEvT_T0_DpT1_,"axG",@progbits,_ZN2at6native12_GLOBAL__N_125multi_tensor_apply_kernelINS1_28TensorListScalarListMetadataIdLi3EEENS1_26TernaryOpScalarListFunctorIdLi3ELi2ELi2EEEJNS0_11LerpFunctorIdEEEEEvT_T0_DpT1_,comdat
.Lfunc_end24:
	.size	_ZN2at6native12_GLOBAL__N_125multi_tensor_apply_kernelINS1_28TensorListScalarListMetadataIdLi3EEENS1_26TernaryOpScalarListFunctorIdLi3ELi2ELi2EEEJNS0_11LerpFunctorIdEEEEEvT_T0_DpT1_, .Lfunc_end24-_ZN2at6native12_GLOBAL__N_125multi_tensor_apply_kernelINS1_28TensorListScalarListMetadataIdLi3EEENS1_26TernaryOpScalarListFunctorIdLi3ELi2ELi2EEEJNS0_11LerpFunctorIdEEEEEvT_T0_DpT1_
                                        ; -- End function
	.set _ZN2at6native12_GLOBAL__N_125multi_tensor_apply_kernelINS1_28TensorListScalarListMetadataIdLi3EEENS1_26TernaryOpScalarListFunctorIdLi3ELi2ELi2EEEJNS0_11LerpFunctorIdEEEEEvT_T0_DpT1_.num_vgpr, 54
	.set _ZN2at6native12_GLOBAL__N_125multi_tensor_apply_kernelINS1_28TensorListScalarListMetadataIdLi3EEENS1_26TernaryOpScalarListFunctorIdLi3ELi2ELi2EEEJNS0_11LerpFunctorIdEEEEEvT_T0_DpT1_.num_agpr, 0
	.set _ZN2at6native12_GLOBAL__N_125multi_tensor_apply_kernelINS1_28TensorListScalarListMetadataIdLi3EEENS1_26TernaryOpScalarListFunctorIdLi3ELi2ELi2EEEJNS0_11LerpFunctorIdEEEEEvT_T0_DpT1_.numbered_sgpr, 31
	.set _ZN2at6native12_GLOBAL__N_125multi_tensor_apply_kernelINS1_28TensorListScalarListMetadataIdLi3EEENS1_26TernaryOpScalarListFunctorIdLi3ELi2ELi2EEEJNS0_11LerpFunctorIdEEEEEvT_T0_DpT1_.num_named_barrier, 0
	.set _ZN2at6native12_GLOBAL__N_125multi_tensor_apply_kernelINS1_28TensorListScalarListMetadataIdLi3EEENS1_26TernaryOpScalarListFunctorIdLi3ELi2ELi2EEEJNS0_11LerpFunctorIdEEEEEvT_T0_DpT1_.private_seg_size, 0
	.set _ZN2at6native12_GLOBAL__N_125multi_tensor_apply_kernelINS1_28TensorListScalarListMetadataIdLi3EEENS1_26TernaryOpScalarListFunctorIdLi3ELi2ELi2EEEJNS0_11LerpFunctorIdEEEEEvT_T0_DpT1_.uses_vcc, 1
	.set _ZN2at6native12_GLOBAL__N_125multi_tensor_apply_kernelINS1_28TensorListScalarListMetadataIdLi3EEENS1_26TernaryOpScalarListFunctorIdLi3ELi2ELi2EEEJNS0_11LerpFunctorIdEEEEEvT_T0_DpT1_.uses_flat_scratch, 0
	.set _ZN2at6native12_GLOBAL__N_125multi_tensor_apply_kernelINS1_28TensorListScalarListMetadataIdLi3EEENS1_26TernaryOpScalarListFunctorIdLi3ELi2ELi2EEEJNS0_11LerpFunctorIdEEEEEvT_T0_DpT1_.has_dyn_sized_stack, 0
	.set _ZN2at6native12_GLOBAL__N_125multi_tensor_apply_kernelINS1_28TensorListScalarListMetadataIdLi3EEENS1_26TernaryOpScalarListFunctorIdLi3ELi2ELi2EEEJNS0_11LerpFunctorIdEEEEEvT_T0_DpT1_.has_recursion, 0
	.set _ZN2at6native12_GLOBAL__N_125multi_tensor_apply_kernelINS1_28TensorListScalarListMetadataIdLi3EEENS1_26TernaryOpScalarListFunctorIdLi3ELi2ELi2EEEJNS0_11LerpFunctorIdEEEEEvT_T0_DpT1_.has_indirect_call, 0
	.section	.AMDGPU.csdata,"",@progbits
; Kernel info:
; codeLenInByte = 1604
; TotalNumSgprs: 37
; NumVgprs: 54
; NumAgprs: 0
; TotalNumVgprs: 54
; ScratchSize: 0
; MemoryBound: 0
; FloatMode: 240
; IeeeMode: 1
; LDSByteSize: 0 bytes/workgroup (compile time only)
; SGPRBlocks: 4
; VGPRBlocks: 6
; NumSGPRsForWavesPerEU: 37
; NumVGPRsForWavesPerEU: 54
; AccumOffset: 56
; Occupancy: 8
; WaveLimiterHint : 1
; COMPUTE_PGM_RSRC2:SCRATCH_EN: 0
; COMPUTE_PGM_RSRC2:USER_SGPR: 2
; COMPUTE_PGM_RSRC2:TRAP_HANDLER: 0
; COMPUTE_PGM_RSRC2:TGID_X_EN: 1
; COMPUTE_PGM_RSRC2:TGID_Y_EN: 0
; COMPUTE_PGM_RSRC2:TGID_Z_EN: 0
; COMPUTE_PGM_RSRC2:TIDIG_COMP_CNT: 0
; COMPUTE_PGM_RSRC3_GFX90A:ACCUM_OFFSET: 13
; COMPUTE_PGM_RSRC3_GFX90A:TG_SPLIT: 0
	.section	.text._ZN2at6native12_GLOBAL__N_125multi_tensor_apply_kernelINS1_28TensorListScalarListMetadataIfLi3EEENS1_26TernaryOpScalarListFunctorIfLi3ELi2ELi2EEEJNS0_11LerpFunctorIfEEEEEvT_T0_DpT1_,"axG",@progbits,_ZN2at6native12_GLOBAL__N_125multi_tensor_apply_kernelINS1_28TensorListScalarListMetadataIfLi3EEENS1_26TernaryOpScalarListFunctorIfLi3ELi2ELi2EEEJNS0_11LerpFunctorIfEEEEEvT_T0_DpT1_,comdat
	.globl	_ZN2at6native12_GLOBAL__N_125multi_tensor_apply_kernelINS1_28TensorListScalarListMetadataIfLi3EEENS1_26TernaryOpScalarListFunctorIfLi3ELi2ELi2EEEJNS0_11LerpFunctorIfEEEEEvT_T0_DpT1_ ; -- Begin function _ZN2at6native12_GLOBAL__N_125multi_tensor_apply_kernelINS1_28TensorListScalarListMetadataIfLi3EEENS1_26TernaryOpScalarListFunctorIfLi3ELi2ELi2EEEJNS0_11LerpFunctorIfEEEEEvT_T0_DpT1_
	.p2align	8
	.type	_ZN2at6native12_GLOBAL__N_125multi_tensor_apply_kernelINS1_28TensorListScalarListMetadataIfLi3EEENS1_26TernaryOpScalarListFunctorIfLi3ELi2ELi2EEEJNS0_11LerpFunctorIfEEEEEvT_T0_DpT1_,@function
_ZN2at6native12_GLOBAL__N_125multi_tensor_apply_kernelINS1_28TensorListScalarListMetadataIfLi3EEENS1_26TernaryOpScalarListFunctorIfLi3ELi2ELi2EEEJNS0_11LerpFunctorIfEEEEEvT_T0_DpT1_: ; @_ZN2at6native12_GLOBAL__N_125multi_tensor_apply_kernelINS1_28TensorListScalarListMetadataIfLi3EEENS1_26TernaryOpScalarListFunctorIfLi3ELi2ELi2EEEJNS0_11LerpFunctorIfEEEEEvT_T0_DpT1_
; %bb.0:
	v_mov_b32_e32 v1, s2
	global_load_ubyte v1, v1, s[0:1] offset:1728
	s_add_u32 s3, s0, s2
	s_mul_i32 s4, s2, 3
	s_addc_u32 s5, s1, 0
	s_mul_hi_u32 s6, s2, 3
	s_add_u32 s2, s3, s4
	s_addc_u32 s3, s5, s6
	s_load_dword s2, s[2:3], 0x800
	s_mov_b32 s13, 0
	s_mov_b32 s17, s13
	v_mov_b32_e32 v3, 0
	s_waitcnt lgkmcnt(0)
	s_ashr_i32 s3, s2, 31
	s_waitcnt vmcnt(0)
	v_readfirstlane_b32 s4, v1
	v_lshlrev_b32_e32 v1, 2, v1
	v_sub_co_u32_e32 v4, vcc, 0, v1
	s_lshl_b32 s8, s4, 3
	s_nop 0
	v_subb_co_u32_e64 v5, s[4:5], 0, 0, vcc
	s_add_u32 s10, s0, s8
	s_load_dwordx2 s[20:21], s[0:1], s8 offset:0x480
	s_load_dwordx2 s[4:5], s[0:1], s8 offset:0x0
	;; [unrolled: 1-line block ×4, first 2 shown]
	s_addc_u32 s11, s1, 0
	v_lshl_add_u64 v[4:5], s[10:11], 0, v[4:5]
	s_lshl_b64 s[8:9], s[2:3], 18
	v_readfirstlane_b32 s10, v4
	v_readfirstlane_b32 s11, v5
	s_load_dword s10, s[10:11], 0x600
	s_waitcnt lgkmcnt(0)
	s_add_u32 s11, s6, s8
	s_or_b32 s11, s18, s11
	s_and_b32 s12, s4, 15
	s_and_b32 s11, s11, 15
	s_cmp_lg_u32 s11, 0
	s_cselect_b64 s[22:23], -1, 0
	s_lshl_b64 s[2:3], s[2:3], 16
	s_sub_u32 s14, s20, s2
	s_subb_u32 s15, s21, s3
	s_and_b32 s16, s20, 3
	s_or_b64 s[2:3], s[12:13], s[16:17]
	s_cmp_lg_u64 s[2:3], 0
	s_cselect_b64 s[2:3], -1, 0
	s_or_b64 s[2:3], s[22:23], s[2:3]
	s_andn2_b64 vcc, exec, s[2:3]
	s_mov_b64 s[2:3], -1
	s_cbranch_vccz .LBB25_5
; %bb.1:
	v_mov_b64_e32 v[4:5], 0x10000
	v_cmp_lt_i64_e32 vcc, s[14:15], v[4:5]
	s_and_b64 s[2:3], vcc, exec
	s_cselect_b32 s13, s15, 0
	s_cselect_b32 s12, s14, 0x10000
	v_lshlrev_b32_e32 v2, 2, v0
	v_cmp_gt_i64_e32 vcc, s[12:13], v[2:3]
	s_and_saveexec_b64 s[16:17], vcc
	s_cbranch_execz .LBB25_4
; %bb.2:
	s_load_dword s2, s[0:1], 0xd14
	v_mov_b32_e32 v1, v3
	v_sub_f32_e64 v2, 1.0, s10
	s_mov_b32 s21, 0
	v_lshlrev_b32_e32 v4, 4, v0
	s_waitcnt lgkmcnt(0)
	s_and_b32 s20, s2, 0xffff
	s_lshl_b32 s22, s20, 4
	s_add_u32 s24, s4, 8
	s_addc_u32 s25, s5, 0
	v_mov_b32_e32 v5, 0
	s_add_u32 s26, s6, 8
	v_cmp_lt_f32_e64 vcc, |s10|, 0.5
	s_mov_b32 s11, s10
	v_mov_b32_e32 v3, v2
	v_lshl_add_u64 v[4:5], s[8:9], 0, v[4:5]
	s_mov_b32 s23, s21
	s_addc_u32 s27, s7, 0
	s_mov_b64 s[28:29], 0
	v_mov_b64_e32 v[6:7], v[0:1]
.LBB25_3:                               ; =>This Inner Loop Header: Depth=1
	v_lshl_add_u64 v[16:17], s[24:25], 0, v[4:5]
	v_lshl_add_u64 v[18:19], s[26:27], 0, v[4:5]
	global_load_dwordx4 v[8:11], v[16:17], off offset:-8
	global_load_dwordx4 v[12:15], v[18:19], off offset:-8
	v_lshl_add_u64 v[6:7], v[6:7], 0, s[20:21]
	v_lshlrev_b64 v[18:19], 2, v[6:7]
	v_cmp_le_i64_e64 s[2:3], s[12:13], v[18:19]
	v_lshl_add_u64 v[16:17], s[18:19], 0, v[4:5]
	v_lshl_add_u64 v[4:5], v[4:5], 0, s[22:23]
	s_or_b64 s[28:29], s[2:3], s[28:29]
	s_waitcnt vmcnt(0)
	v_pk_add_f32 v[18:19], v[12:13], v[8:9] neg_lo:[0,1] neg_hi:[0,1]
	v_pk_add_f32 v[20:21], v[14:15], v[10:11] neg_lo:[0,1] neg_hi:[0,1]
	v_pk_fma_f32 v[8:9], s[10:11], v[18:19], v[8:9]
	v_pk_fma_f32 v[12:13], v[2:3], v[18:19], v[12:13] neg_lo:[1,0,0] neg_hi:[1,0,0]
	v_pk_fma_f32 v[10:11], s[10:11], v[20:21], v[10:11]
	v_pk_fma_f32 v[14:15], v[2:3], v[20:21], v[14:15] neg_lo:[1,0,0] neg_hi:[1,0,0]
	v_cndmask_b32_e32 v9, v13, v9, vcc
	v_cndmask_b32_e32 v8, v12, v8, vcc
	;; [unrolled: 1-line block ×4, first 2 shown]
	global_store_dwordx4 v[16:17], v[8:11], off
	s_andn2_b64 exec, exec, s[28:29]
	s_cbranch_execnz .LBB25_3
.LBB25_4:
	s_or_b64 exec, exec, s[16:17]
	s_mov_b64 s[2:3], 0
.LBB25_5:
	s_andn2_b64 vcc, exec, s[2:3]
	s_cbranch_vccnz .LBB25_25
; %bb.6:
	v_cmp_lt_i64_e64 s[2:3], s[14:15], 1
	s_and_b64 vcc, exec, s[2:3]
	s_cbranch_vccnz .LBB25_25
; %bb.7:
	s_load_dword s2, s[0:1], 0xd14
	v_mov_b64_e32 v[2:3], 0x10000
	v_cmp_lt_i64_e32 vcc, s[14:15], v[2:3]
	s_and_b64 s[0:1], vcc, exec
	s_mov_b32 s3, 0
	s_cselect_b32 s13, s15, 0
	s_cselect_b32 s12, s14, 0x10000
	s_waitcnt lgkmcnt(0)
	s_and_b32 s2, s2, 0xffff
	v_cmp_lt_u64_e32 vcc, s[14:15], v[2:3]
	v_mov_b32_e32 v1, 0
	s_and_b64 s[0:1], vcc, exec
	s_mul_i32 s22, s2, 3
	s_mov_b32 s23, s3
	s_cselect_b32 s15, s15, 0
	s_cselect_b32 s14, s14, 0x10000
	v_lshlrev_b32_e32 v16, 2, v0
	v_mov_b32_e32 v17, v1
	v_lshl_add_u64 v[14:15], s[22:23], 0, v[0:1]
	s_lshl_b32 s22, s2, 3
	v_lshl_add_u64 v[24:25], v[0:1], 0, s[2:3]
	s_lshl_b32 s20, s2, 1
	s_mov_b32 s21, s3
	v_mad_u64_u32 v[12:13], s[24:25], s2, 12, v[16:17]
	v_lshl_add_u64 v[20:21], s[22:23], 0, v[16:17]
	v_lshlrev_b32_e32 v30, 2, v24
	v_mov_b32_e32 v31, v1
	v_cmp_lt_f32_e64 s[0:1], |s10|, 0.5
	v_sub_f32_e64 v32, 1.0, s10
	s_lshl_b32 s11, s2, 2
	v_lshl_add_u64 v[2:3], s[4:5], 0, v[16:17]
	s_lshl_b32 s16, s2, 4
	s_mov_b32 s17, s3
	v_lshl_add_u64 v[4:5], s[6:7], 0, v[16:17]
	v_lshl_add_u64 v[6:7], s[18:19], 0, v[16:17]
	;; [unrolled: 1-line block ×12, first 2 shown]
	s_mov_b64 s[18:19], 0
	s_branch .LBB25_9
.LBB25_8:                               ;   in Loop: Header=BB25_9 Depth=1
	s_or_b64 exec, exec, s[2:3]
	s_add_u32 s18, s18, s11
	s_addc_u32 s19, s19, 0
	s_waitcnt vmcnt(0)
	v_mov_b64_e32 v[34:35], s[12:13]
	v_cmp_ge_i64_e32 vcc, s[18:19], v[34:35]
	v_lshl_add_u64 v[2:3], v[2:3], 0, s[16:17]
	v_lshl_add_u64 v[4:5], v[4:5], 0, s[16:17]
	;; [unrolled: 1-line block ×12, first 2 shown]
	s_cbranch_vccnz .LBB25_25
.LBB25_9:                               ; =>This Inner Loop Header: Depth=1
	v_lshl_add_u64 v[34:35], v[0:1], 0, s[18:19]
	v_cmp_gt_u64_e32 vcc, s[14:15], v[34:35]
	v_mov_b32_e32 v35, 0
	v_mov_b32_e32 v34, 0
	s_and_saveexec_b64 s[2:3], vcc
	s_cbranch_execz .LBB25_11
; %bb.10:                               ;   in Loop: Header=BB25_9 Depth=1
	v_lshl_add_u64 v[38:39], v[2:3], 0, s[8:9]
	v_lshl_add_u64 v[36:37], v[4:5], 0, s[8:9]
	global_load_dword v34, v[38:39], off
	global_load_dword v35, v[36:37], off
.LBB25_11:                              ;   in Loop: Header=BB25_9 Depth=1
	s_or_b64 exec, exec, s[2:3]
	v_lshl_add_u64 v[36:37], v[24:25], 0, s[18:19]
	v_cmp_gt_u64_e64 s[2:3], s[14:15], v[36:37]
	v_mov_b32_e32 v33, 0
	v_mov_b32_e32 v37, 0
	;; [unrolled: 1-line block ×3, first 2 shown]
	s_and_saveexec_b64 s[4:5], s[2:3]
	s_cbranch_execz .LBB25_13
; %bb.12:                               ;   in Loop: Header=BB25_9 Depth=1
	v_lshl_add_u64 v[40:41], v[26:27], 0, s[8:9]
	v_lshl_add_u64 v[38:39], v[28:29], 0, s[8:9]
	global_load_dword v36, v[40:41], off
	global_load_dword v37, v[38:39], off
.LBB25_13:                              ;   in Loop: Header=BB25_9 Depth=1
	s_or_b64 exec, exec, s[4:5]
	v_lshl_add_u64 v[38:39], v[22:23], 0, s[18:19]
	v_cmp_gt_u64_e64 s[4:5], s[14:15], v[38:39]
	v_mov_b32_e32 v38, 0
	s_and_saveexec_b64 s[6:7], s[4:5]
	s_cbranch_execz .LBB25_15
; %bb.14:                               ;   in Loop: Header=BB25_9 Depth=1
	v_lshl_add_u64 v[42:43], v[16:17], 0, s[8:9]
	v_lshl_add_u64 v[40:41], v[18:19], 0, s[8:9]
	global_load_dword v38, v[42:43], off
	global_load_dword v33, v[40:41], off
.LBB25_15:                              ;   in Loop: Header=BB25_9 Depth=1
	s_or_b64 exec, exec, s[6:7]
	v_lshl_add_u64 v[40:41], v[14:15], 0, s[18:19]
	v_cmp_gt_u64_e64 s[6:7], s[14:15], v[40:41]
	v_mov_b32_e32 v39, 0
	v_mov_b32_e32 v40, 0
	s_and_saveexec_b64 s[20:21], s[6:7]
	s_cbranch_execnz .LBB25_20
; %bb.16:                               ;   in Loop: Header=BB25_9 Depth=1
	s_or_b64 exec, exec, s[20:21]
	s_and_saveexec_b64 s[20:21], vcc
	s_cbranch_execnz .LBB25_21
.LBB25_17:                              ;   in Loop: Header=BB25_9 Depth=1
	s_or_b64 exec, exec, s[20:21]
	s_and_saveexec_b64 s[20:21], s[2:3]
	s_cbranch_execnz .LBB25_22
.LBB25_18:                              ;   in Loop: Header=BB25_9 Depth=1
	s_or_b64 exec, exec, s[20:21]
	s_and_saveexec_b64 s[2:3], s[4:5]
	s_cbranch_execnz .LBB25_23
.LBB25_19:                              ;   in Loop: Header=BB25_9 Depth=1
	s_or_b64 exec, exec, s[2:3]
	s_and_saveexec_b64 s[2:3], s[6:7]
	s_cbranch_execz .LBB25_8
	s_branch .LBB25_24
.LBB25_20:                              ;   in Loop: Header=BB25_9 Depth=1
	v_lshl_add_u64 v[44:45], v[8:9], 0, s[8:9]
	v_lshl_add_u64 v[42:43], v[10:11], 0, s[8:9]
	global_load_dword v40, v[44:45], off
	global_load_dword v39, v[42:43], off
	s_or_b64 exec, exec, s[20:21]
	s_and_saveexec_b64 s[20:21], vcc
	s_cbranch_execz .LBB25_17
.LBB25_21:                              ;   in Loop: Header=BB25_9 Depth=1
	s_waitcnt vmcnt(0)
	v_sub_f32_e32 v41, v35, v34
	v_fmac_f32_e32 v34, s10, v41
	v_fma_f32 v35, -v32, v41, v35
	v_lshl_add_u64 v[42:43], v[6:7], 0, s[8:9]
	v_cndmask_b32_e64 v34, v35, v34, s[0:1]
	global_store_dword v[42:43], v34, off
	s_or_b64 exec, exec, s[20:21]
	s_and_saveexec_b64 s[20:21], s[2:3]
	s_cbranch_execz .LBB25_18
.LBB25_22:                              ;   in Loop: Header=BB25_9 Depth=1
	s_waitcnt vmcnt(0)
	v_sub_f32_e32 v34, v37, v36
	v_fmac_f32_e32 v36, s10, v34
	v_fma_f32 v34, -v32, v34, v37
	v_cndmask_b32_e64 v36, v34, v36, s[0:1]
	v_lshl_add_u64 v[34:35], v[30:31], 0, s[8:9]
	global_store_dword v[34:35], v36, off
	s_or_b64 exec, exec, s[20:21]
	s_and_saveexec_b64 s[2:3], s[4:5]
	s_cbranch_execz .LBB25_19
.LBB25_23:                              ;   in Loop: Header=BB25_9 Depth=1
	s_waitcnt vmcnt(0)
	v_sub_f32_e32 v34, v33, v38
	v_fmac_f32_e32 v38, s10, v34
	v_fma_f32 v33, -v32, v34, v33
	v_cndmask_b32_e64 v33, v33, v38, s[0:1]
	v_lshl_add_u64 v[34:35], v[20:21], 0, s[8:9]
	global_store_dword v[34:35], v33, off
	s_or_b64 exec, exec, s[2:3]
	s_and_saveexec_b64 s[2:3], s[6:7]
	s_cbranch_execz .LBB25_8
.LBB25_24:                              ;   in Loop: Header=BB25_9 Depth=1
	s_waitcnt vmcnt(0)
	v_sub_f32_e32 v33, v39, v40
	v_fmac_f32_e32 v40, s10, v33
	v_fma_f32 v33, -v32, v33, v39
	v_cndmask_b32_e64 v33, v33, v40, s[0:1]
	v_lshl_add_u64 v[34:35], v[12:13], 0, s[8:9]
	global_store_dword v[34:35], v33, off
	s_branch .LBB25_8
.LBB25_25:
	s_endpgm
	.section	.rodata,"a",@progbits
	.p2align	6, 0x0
	.amdhsa_kernel _ZN2at6native12_GLOBAL__N_125multi_tensor_apply_kernelINS1_28TensorListScalarListMetadataIfLi3EEENS1_26TernaryOpScalarListFunctorIfLi3ELi2ELi2EEEJNS0_11LerpFunctorIfEEEEEvT_T0_DpT1_
		.amdhsa_group_segment_fixed_size 0
		.amdhsa_private_segment_fixed_size 0
		.amdhsa_kernarg_size 3592
		.amdhsa_user_sgpr_count 2
		.amdhsa_user_sgpr_dispatch_ptr 0
		.amdhsa_user_sgpr_queue_ptr 0
		.amdhsa_user_sgpr_kernarg_segment_ptr 1
		.amdhsa_user_sgpr_dispatch_id 0
		.amdhsa_user_sgpr_kernarg_preload_length 0
		.amdhsa_user_sgpr_kernarg_preload_offset 0
		.amdhsa_user_sgpr_private_segment_size 0
		.amdhsa_uses_dynamic_stack 0
		.amdhsa_enable_private_segment 0
		.amdhsa_system_sgpr_workgroup_id_x 1
		.amdhsa_system_sgpr_workgroup_id_y 0
		.amdhsa_system_sgpr_workgroup_id_z 0
		.amdhsa_system_sgpr_workgroup_info 0
		.amdhsa_system_vgpr_workitem_id 0
		.amdhsa_next_free_vgpr 46
		.amdhsa_next_free_sgpr 30
		.amdhsa_accum_offset 48
		.amdhsa_reserve_vcc 1
		.amdhsa_float_round_mode_32 0
		.amdhsa_float_round_mode_16_64 0
		.amdhsa_float_denorm_mode_32 3
		.amdhsa_float_denorm_mode_16_64 3
		.amdhsa_dx10_clamp 1
		.amdhsa_ieee_mode 1
		.amdhsa_fp16_overflow 0
		.amdhsa_tg_split 0
		.amdhsa_exception_fp_ieee_invalid_op 0
		.amdhsa_exception_fp_denorm_src 0
		.amdhsa_exception_fp_ieee_div_zero 0
		.amdhsa_exception_fp_ieee_overflow 0
		.amdhsa_exception_fp_ieee_underflow 0
		.amdhsa_exception_fp_ieee_inexact 0
		.amdhsa_exception_int_div_zero 0
	.end_amdhsa_kernel
	.section	.text._ZN2at6native12_GLOBAL__N_125multi_tensor_apply_kernelINS1_28TensorListScalarListMetadataIfLi3EEENS1_26TernaryOpScalarListFunctorIfLi3ELi2ELi2EEEJNS0_11LerpFunctorIfEEEEEvT_T0_DpT1_,"axG",@progbits,_ZN2at6native12_GLOBAL__N_125multi_tensor_apply_kernelINS1_28TensorListScalarListMetadataIfLi3EEENS1_26TernaryOpScalarListFunctorIfLi3ELi2ELi2EEEJNS0_11LerpFunctorIfEEEEEvT_T0_DpT1_,comdat
.Lfunc_end25:
	.size	_ZN2at6native12_GLOBAL__N_125multi_tensor_apply_kernelINS1_28TensorListScalarListMetadataIfLi3EEENS1_26TernaryOpScalarListFunctorIfLi3ELi2ELi2EEEJNS0_11LerpFunctorIfEEEEEvT_T0_DpT1_, .Lfunc_end25-_ZN2at6native12_GLOBAL__N_125multi_tensor_apply_kernelINS1_28TensorListScalarListMetadataIfLi3EEENS1_26TernaryOpScalarListFunctorIfLi3ELi2ELi2EEEJNS0_11LerpFunctorIfEEEEEvT_T0_DpT1_
                                        ; -- End function
	.set _ZN2at6native12_GLOBAL__N_125multi_tensor_apply_kernelINS1_28TensorListScalarListMetadataIfLi3EEENS1_26TernaryOpScalarListFunctorIfLi3ELi2ELi2EEEJNS0_11LerpFunctorIfEEEEEvT_T0_DpT1_.num_vgpr, 46
	.set _ZN2at6native12_GLOBAL__N_125multi_tensor_apply_kernelINS1_28TensorListScalarListMetadataIfLi3EEENS1_26TernaryOpScalarListFunctorIfLi3ELi2ELi2EEEJNS0_11LerpFunctorIfEEEEEvT_T0_DpT1_.num_agpr, 0
	.set _ZN2at6native12_GLOBAL__N_125multi_tensor_apply_kernelINS1_28TensorListScalarListMetadataIfLi3EEENS1_26TernaryOpScalarListFunctorIfLi3ELi2ELi2EEEJNS0_11LerpFunctorIfEEEEEvT_T0_DpT1_.numbered_sgpr, 30
	.set _ZN2at6native12_GLOBAL__N_125multi_tensor_apply_kernelINS1_28TensorListScalarListMetadataIfLi3EEENS1_26TernaryOpScalarListFunctorIfLi3ELi2ELi2EEEJNS0_11LerpFunctorIfEEEEEvT_T0_DpT1_.num_named_barrier, 0
	.set _ZN2at6native12_GLOBAL__N_125multi_tensor_apply_kernelINS1_28TensorListScalarListMetadataIfLi3EEENS1_26TernaryOpScalarListFunctorIfLi3ELi2ELi2EEEJNS0_11LerpFunctorIfEEEEEvT_T0_DpT1_.private_seg_size, 0
	.set _ZN2at6native12_GLOBAL__N_125multi_tensor_apply_kernelINS1_28TensorListScalarListMetadataIfLi3EEENS1_26TernaryOpScalarListFunctorIfLi3ELi2ELi2EEEJNS0_11LerpFunctorIfEEEEEvT_T0_DpT1_.uses_vcc, 1
	.set _ZN2at6native12_GLOBAL__N_125multi_tensor_apply_kernelINS1_28TensorListScalarListMetadataIfLi3EEENS1_26TernaryOpScalarListFunctorIfLi3ELi2ELi2EEEJNS0_11LerpFunctorIfEEEEEvT_T0_DpT1_.uses_flat_scratch, 0
	.set _ZN2at6native12_GLOBAL__N_125multi_tensor_apply_kernelINS1_28TensorListScalarListMetadataIfLi3EEENS1_26TernaryOpScalarListFunctorIfLi3ELi2ELi2EEEJNS0_11LerpFunctorIfEEEEEvT_T0_DpT1_.has_dyn_sized_stack, 0
	.set _ZN2at6native12_GLOBAL__N_125multi_tensor_apply_kernelINS1_28TensorListScalarListMetadataIfLi3EEENS1_26TernaryOpScalarListFunctorIfLi3ELi2ELi2EEEJNS0_11LerpFunctorIfEEEEEvT_T0_DpT1_.has_recursion, 0
	.set _ZN2at6native12_GLOBAL__N_125multi_tensor_apply_kernelINS1_28TensorListScalarListMetadataIfLi3EEENS1_26TernaryOpScalarListFunctorIfLi3ELi2ELi2EEEJNS0_11LerpFunctorIfEEEEEvT_T0_DpT1_.has_indirect_call, 0
	.section	.AMDGPU.csdata,"",@progbits
; Kernel info:
; codeLenInByte = 1528
; TotalNumSgprs: 36
; NumVgprs: 46
; NumAgprs: 0
; TotalNumVgprs: 46
; ScratchSize: 0
; MemoryBound: 0
; FloatMode: 240
; IeeeMode: 1
; LDSByteSize: 0 bytes/workgroup (compile time only)
; SGPRBlocks: 4
; VGPRBlocks: 5
; NumSGPRsForWavesPerEU: 36
; NumVGPRsForWavesPerEU: 46
; AccumOffset: 48
; Occupancy: 8
; WaveLimiterHint : 0
; COMPUTE_PGM_RSRC2:SCRATCH_EN: 0
; COMPUTE_PGM_RSRC2:USER_SGPR: 2
; COMPUTE_PGM_RSRC2:TRAP_HANDLER: 0
; COMPUTE_PGM_RSRC2:TGID_X_EN: 1
; COMPUTE_PGM_RSRC2:TGID_Y_EN: 0
; COMPUTE_PGM_RSRC2:TGID_Z_EN: 0
; COMPUTE_PGM_RSRC2:TIDIG_COMP_CNT: 0
; COMPUTE_PGM_RSRC3_GFX90A:ACCUM_OFFSET: 11
; COMPUTE_PGM_RSRC3_GFX90A:TG_SPLIT: 0
	.section	.text._ZN2at6native12_GLOBAL__N_125multi_tensor_apply_kernelINS1_28TensorListScalarListMetadataIN3c107complexIdEELi3EEENS1_26TernaryOpScalarListFunctorIS6_Li3ELi2ELi2EEEJNS0_11LerpFunctorIS6_EEEEEvT_T0_DpT1_,"axG",@progbits,_ZN2at6native12_GLOBAL__N_125multi_tensor_apply_kernelINS1_28TensorListScalarListMetadataIN3c107complexIdEELi3EEENS1_26TernaryOpScalarListFunctorIS6_Li3ELi2ELi2EEEJNS0_11LerpFunctorIS6_EEEEEvT_T0_DpT1_,comdat
	.globl	_ZN2at6native12_GLOBAL__N_125multi_tensor_apply_kernelINS1_28TensorListScalarListMetadataIN3c107complexIdEELi3EEENS1_26TernaryOpScalarListFunctorIS6_Li3ELi2ELi2EEEJNS0_11LerpFunctorIS6_EEEEEvT_T0_DpT1_ ; -- Begin function _ZN2at6native12_GLOBAL__N_125multi_tensor_apply_kernelINS1_28TensorListScalarListMetadataIN3c107complexIdEELi3EEENS1_26TernaryOpScalarListFunctorIS6_Li3ELi2ELi2EEEJNS0_11LerpFunctorIS6_EEEEEvT_T0_DpT1_
	.p2align	8
	.type	_ZN2at6native12_GLOBAL__N_125multi_tensor_apply_kernelINS1_28TensorListScalarListMetadataIN3c107complexIdEELi3EEENS1_26TernaryOpScalarListFunctorIS6_Li3ELi2ELi2EEEJNS0_11LerpFunctorIS6_EEEEEvT_T0_DpT1_,@function
_ZN2at6native12_GLOBAL__N_125multi_tensor_apply_kernelINS1_28TensorListScalarListMetadataIN3c107complexIdEELi3EEENS1_26TernaryOpScalarListFunctorIS6_Li3ELi2ELi2EEEJNS0_11LerpFunctorIS6_EEEEEvT_T0_DpT1_: ; @_ZN2at6native12_GLOBAL__N_125multi_tensor_apply_kernelINS1_28TensorListScalarListMetadataIN3c107complexIdEELi3EEENS1_26TernaryOpScalarListFunctorIS6_Li3ELi2ELi2EEEJNS0_11LerpFunctorIS6_EEEEEvT_T0_DpT1_
; %bb.0:
	v_mov_b32_e32 v1, s2
	global_load_ubyte v1, v1, s[0:1] offset:2304
	s_add_u32 s3, s0, s2
	s_mul_hi_u32 s4, s2, 3
	s_mul_i32 s2, s2, 3
	s_addc_u32 s5, s1, 0
	s_add_u32 s2, s3, s2
	s_addc_u32 s3, s5, s4
	s_load_dword s2, s[2:3], 0xa40
	s_mov_b32 s5, 0
	s_mov_b32 s9, s5
	s_waitcnt lgkmcnt(0)
	s_ashr_i32 s3, s2, 31
	s_waitcnt vmcnt(0)
	v_readfirstlane_b32 s4, v1
	s_lshl_b32 s4, s4, 3
	s_load_dwordx2 s[10:11], s[0:1], s4 offset:0x480
	s_load_dwordx2 s[16:17], s[0:1], s4 offset:0x0
	;; [unrolled: 1-line block ×4, first 2 shown]
	s_add_u32 s6, s0, s4
	s_addc_u32 s7, s1, 0
	s_lshl_b64 s[22:23], s[2:3], 20
	s_waitcnt lgkmcnt(0)
	s_add_u32 s16, s16, s22
	s_addc_u32 s17, s17, s23
	s_add_u32 s18, s18, s22
	s_addc_u32 s19, s19, s23
	s_add_u32 s20, s20, s22
	s_load_dwordx4 s[12:15], s[6:7], s4 offset:0x600
	s_addc_u32 s21, s21, s23
	s_or_b32 s6, s20, s18
	s_lshl_b64 s[2:3], s[2:3], 16
	s_and_b32 s4, s16, 63
	s_and_b32 s6, s6, 63
	s_cmp_lg_u32 s6, 0
	s_cselect_b64 s[22:23], -1, 0
	s_sub_u32 s6, s10, s2
	s_subb_u32 s7, s11, s3
	s_and_b32 s8, s10, 3
	s_or_b64 s[2:3], s[4:5], s[8:9]
	s_cmp_lg_u64 s[2:3], 0
	s_cselect_b64 s[2:3], -1, 0
	s_or_b64 s[2:3], s[22:23], s[2:3]
	s_andn2_b64 vcc, exec, s[2:3]
	s_mov_b64 s[2:3], -1
	s_cbranch_vccz .LBB26_21
; %bb.1:
	v_mov_b64_e32 v[2:3], 0x10000
	v_cmp_lt_i64_e32 vcc, s[6:7], v[2:3]
	s_and_b64 s[2:3], vcc, exec
	v_mov_b32_e32 v39, 0
	s_cselect_b32 s9, s7, 0
	s_cselect_b32 s8, s6, 0x10000
	v_lshlrev_b32_e32 v38, 2, v0
	v_cmp_gt_i64_e32 vcc, s[8:9], v[38:39]
	s_and_saveexec_b64 s[10:11], vcc
	s_cbranch_execz .LBB26_20
; %bb.2:
	s_load_dword s4, s[0:1], 0xf54
	s_waitcnt lgkmcnt(0)
	v_mul_f64 v[2:3], s[14:15], s[14:15]
	s_mov_b32 s2, 0
	v_mov_b32_e32 v1, v39
	v_fmac_f64_e64 v[2:3], s[12:13], s[12:13]
	s_mov_b32 s3, 0x3fd00000
	s_and_b32 s24, s4, 0xffff
	v_cmp_ngt_f64_e64 s[2:3], s[2:3], v[2:3]
	v_add_f64 v[40:41], -s[12:13], 1.0
	s_mov_b64 s[22:23], 0
	v_add_f64 v[42:43], -s[14:15], 0
	s_mov_b32 s25, 0
	v_lshlrev_b32_e32 v38, 6, v0
	s_lshl_b32 s33, s24, 6
	s_mov_b64 s[26:27], s[18:19]
	s_mov_b64 s[28:29], s[16:17]
	;; [unrolled: 1-line block ×3, first 2 shown]
	v_mov_b64_e32 v[44:45], v[0:1]
	s_branch .LBB26_4
.LBB26_3:                               ;   in Loop: Header=BB26_4 Depth=1
	v_lshl_add_u64 v[2:3], s[30:31], 0, v[38:39]
	s_add_u32 s30, s30, s33
	s_addc_u32 s31, s31, 0
	s_add_u32 s28, s28, s33
	v_lshl_add_u64 v[44:45], v[44:45], 0, s[24:25]
	s_addc_u32 s29, s29, 0
	v_lshlrev_b64 v[4:5], 2, v[44:45]
	s_add_u32 s26, s26, s33
	s_addc_u32 s27, s27, 0
	v_cmp_le_i64_e32 vcc, s[8:9], v[4:5]
	s_or_b64 s[22:23], vcc, s[22:23]
	global_store_dwordx4 v[2:3], v[6:9], off
	global_store_dwordx4 v[2:3], v[18:21], off offset:16
	global_store_dwordx4 v[2:3], v[26:29], off offset:32
	;; [unrolled: 1-line block ×3, first 2 shown]
	s_andn2_b64 exec, exec, s[22:23]
	s_cbranch_execz .LBB26_20
.LBB26_4:                               ; =>This Inner Loop Header: Depth=1
	v_lshl_add_u64 v[6:7], s[28:29], 0, v[38:39]
	global_load_dwordx4 v[26:29], v[6:7], off offset:16
	global_load_dwordx4 v[18:21], v[6:7], off
	v_lshl_add_u64 v[8:9], s[26:27], 0, v[38:39]
	global_load_dwordx4 v[30:33], v[8:9], off offset:16
	global_load_dwordx4 v[34:37], v[8:9], off
	global_load_dwordx4 v[2:5], v[6:7], off offset:48
	global_load_dwordx4 v[14:17], v[6:7], off offset:32
	;; [unrolled: 1-line block ×4, first 2 shown]
	s_mov_b64 s[4:5], -1
	s_and_b64 vcc, exec, s[2:3]
                                        ; implicit-def: $vgpr8_vgpr9
	s_waitcnt vmcnt(4)
	v_add_f64 v[46:47], v[34:35], -v[18:19]
	v_add_f64 v[48:49], v[36:37], -v[20:21]
	s_cbranch_vccz .LBB26_6
; %bb.5:                                ;   in Loop: Header=BB26_4 Depth=1
	v_mul_f64 v[6:7], v[42:43], v[48:49]
	v_mul_f64 v[8:9], v[40:41], v[48:49]
	v_fma_f64 v[6:7], v[40:41], v[46:47], -v[6:7]
	v_fmac_f64_e32 v[8:9], v[42:43], v[46:47]
	v_add_f64 v[6:7], v[34:35], -v[6:7]
	v_add_f64 v[8:9], v[36:37], -v[8:9]
	s_mov_b64 s[4:5], 0
.LBB26_6:                               ;   in Loop: Header=BB26_4 Depth=1
	s_andn2_b64 vcc, exec, s[4:5]
	s_cbranch_vccnz .LBB26_8
; %bb.7:                                ;   in Loop: Header=BB26_4 Depth=1
	v_mul_f64 v[6:7], s[14:15], v[48:49]
	v_mul_f64 v[8:9], s[12:13], v[48:49]
	v_fma_f64 v[6:7], s[12:13], v[46:47], -v[6:7]
	v_fmac_f64_e32 v[8:9], s[14:15], v[46:47]
	v_add_f64 v[6:7], v[18:19], v[6:7]
	v_add_f64 v[8:9], v[20:21], v[8:9]
.LBB26_8:                               ;   in Loop: Header=BB26_4 Depth=1
	v_cndmask_b32_e64 v1, 0, 1, s[2:3]
	v_add_f64 v[34:35], v[30:31], -v[26:27]
	v_add_f64 v[36:37], v[32:33], -v[28:29]
	v_cmp_ne_u32_e64 s[4:5], 1, v1
	s_andn2_b64 vcc, exec, s[2:3]
	s_mov_b64 s[34:35], -1
                                        ; implicit-def: $vgpr20_vgpr21
	s_cbranch_vccnz .LBB26_10
; %bb.9:                                ;   in Loop: Header=BB26_4 Depth=1
	v_mul_f64 v[18:19], v[42:43], v[36:37]
	v_mul_f64 v[20:21], v[40:41], v[36:37]
	v_fma_f64 v[18:19], v[40:41], v[34:35], -v[18:19]
	v_fmac_f64_e32 v[20:21], v[42:43], v[34:35]
	v_add_f64 v[18:19], v[30:31], -v[18:19]
	v_add_f64 v[20:21], v[32:33], -v[20:21]
	s_mov_b64 s[34:35], 0
.LBB26_10:                              ;   in Loop: Header=BB26_4 Depth=1
	s_andn2_b64 vcc, exec, s[34:35]
	s_cbranch_vccnz .LBB26_12
; %bb.11:                               ;   in Loop: Header=BB26_4 Depth=1
	v_mul_f64 v[18:19], s[14:15], v[36:37]
	v_mul_f64 v[20:21], s[12:13], v[36:37]
	v_fma_f64 v[18:19], s[12:13], v[34:35], -v[18:19]
	v_fmac_f64_e32 v[20:21], s[14:15], v[34:35]
	v_add_f64 v[18:19], v[26:27], v[18:19]
	v_add_f64 v[20:21], v[28:29], v[20:21]
.LBB26_12:                              ;   in Loop: Header=BB26_4 Depth=1
	s_waitcnt vmcnt(0)
	v_add_f64 v[30:31], v[22:23], -v[14:15]
	v_add_f64 v[32:33], v[24:25], -v[16:17]
	s_and_b64 vcc, exec, s[4:5]
	s_mov_b64 s[34:35], -1
                                        ; implicit-def: $vgpr28_vgpr29
	s_cbranch_vccnz .LBB26_14
; %bb.13:                               ;   in Loop: Header=BB26_4 Depth=1
	v_mul_f64 v[26:27], v[42:43], v[32:33]
	v_mul_f64 v[28:29], v[40:41], v[32:33]
	v_fma_f64 v[26:27], v[40:41], v[30:31], -v[26:27]
	v_fmac_f64_e32 v[28:29], v[42:43], v[30:31]
	v_add_f64 v[26:27], v[22:23], -v[26:27]
	v_add_f64 v[28:29], v[24:25], -v[28:29]
	s_mov_b64 s[34:35], 0
.LBB26_14:                              ;   in Loop: Header=BB26_4 Depth=1
	s_andn2_b64 vcc, exec, s[34:35]
	s_cbranch_vccnz .LBB26_16
; %bb.15:                               ;   in Loop: Header=BB26_4 Depth=1
	v_mul_f64 v[22:23], s[14:15], v[32:33]
	v_mul_f64 v[24:25], s[12:13], v[32:33]
	v_fma_f64 v[22:23], s[12:13], v[30:31], -v[22:23]
	v_fmac_f64_e32 v[24:25], s[14:15], v[30:31]
	v_add_f64 v[26:27], v[14:15], v[22:23]
	v_add_f64 v[28:29], v[16:17], v[24:25]
.LBB26_16:                              ;   in Loop: Header=BB26_4 Depth=1
	v_add_f64 v[22:23], v[10:11], -v[2:3]
	v_add_f64 v[24:25], v[12:13], -v[4:5]
	s_and_b64 vcc, exec, s[4:5]
	s_mov_b64 s[4:5], -1
                                        ; implicit-def: $vgpr16_vgpr17
	s_cbranch_vccnz .LBB26_18
; %bb.17:                               ;   in Loop: Header=BB26_4 Depth=1
	v_mul_f64 v[14:15], v[42:43], v[24:25]
	v_mul_f64 v[16:17], v[40:41], v[24:25]
	v_fma_f64 v[14:15], v[40:41], v[22:23], -v[14:15]
	v_fmac_f64_e32 v[16:17], v[42:43], v[22:23]
	v_add_f64 v[14:15], v[10:11], -v[14:15]
	v_add_f64 v[16:17], v[12:13], -v[16:17]
	s_mov_b64 s[4:5], 0
.LBB26_18:                              ;   in Loop: Header=BB26_4 Depth=1
	s_andn2_b64 vcc, exec, s[4:5]
	s_cbranch_vccnz .LBB26_3
; %bb.19:                               ;   in Loop: Header=BB26_4 Depth=1
	v_mul_f64 v[10:11], s[14:15], v[24:25]
	v_mul_f64 v[12:13], s[12:13], v[24:25]
	v_fma_f64 v[10:11], s[12:13], v[22:23], -v[10:11]
	v_fmac_f64_e32 v[12:13], s[14:15], v[22:23]
	v_add_f64 v[14:15], v[2:3], v[10:11]
	v_add_f64 v[16:17], v[4:5], v[12:13]
	s_branch .LBB26_3
.LBB26_20:
	s_or_b64 exec, exec, s[10:11]
	s_mov_b64 s[2:3], 0
.LBB26_21:
	s_andn2_b64 vcc, exec, s[2:3]
	s_cbranch_vccnz .LBB26_57
; %bb.22:
	v_cmp_lt_i64_e64 s[2:3], s[6:7], 1
	s_and_b64 vcc, exec, s[2:3]
	s_cbranch_vccnz .LBB26_57
; %bb.23:
	s_load_dword s2, s[0:1], 0xf54
	v_mov_b64_e32 v[2:3], 0x10000
	v_cmp_lt_i64_e32 vcc, s[6:7], v[2:3]
	s_and_b64 s[0:1], vcc, exec
	s_cselect_b32 s25, s7, 0
	s_cselect_b32 s24, s6, 0x10000
	s_waitcnt lgkmcnt(0)
	s_and_b32 s22, s2, 0xffff
	v_cmp_lt_u64_e32 vcc, s[6:7], v[2:3]
	s_and_b64 s[0:1], vcc, exec
	v_mul_f64 v[2:3], s[14:15], s[14:15]
	s_mov_b32 s0, 0
	s_mov_b32 s23, 0
	v_fmac_f64_e64 v[2:3], s[12:13], s[12:13]
	s_mov_b32 s1, 0x3fd00000
	v_mov_b32_e32 v1, 0
	s_cselect_b32 s27, s7, 0
	s_cselect_b32 s26, s6, 0x10000
	s_lshl_b32 s28, s22, 1
	s_mov_b32 s29, s23
	s_mul_i32 s30, s22, 3
	s_mov_b32 s31, s23
	v_cmp_ngt_f64_e64 s[0:1], s[0:1], v[2:3]
	v_add_f64 v[38:39], -s[12:13], 1.0
	s_mov_b64 s[34:35], 0
	v_add_f64 v[40:41], -s[14:15], 0
	s_lshl_b32 s33, s22, 2
	s_branch .LBB26_25
.LBB26_24:                              ;   in Loop: Header=BB26_25 Depth=1
	s_or_b64 exec, exec, s[2:3]
	s_add_u32 s34, s34, s33
	s_addc_u32 s35, s35, 0
	v_mov_b64_e32 v[2:3], s[24:25]
	v_cmp_ge_i64_e32 vcc, s[34:35], v[2:3]
	s_cbranch_vccnz .LBB26_57
.LBB26_25:                              ; =>This Inner Loop Header: Depth=1
	v_lshl_add_u64 v[42:43], s[34:35], 0, v[0:1]
	v_cmp_gt_u64_e64 s[2:3], s[26:27], v[42:43]
	v_mov_b64_e32 v[8:9], 0
	v_mov_b64_e32 v[36:37], 0
	;; [unrolled: 1-line block ×5, first 2 shown]
	s_and_saveexec_b64 s[4:5], s[2:3]
	s_cbranch_execz .LBB26_27
; %bb.26:                               ;   in Loop: Header=BB26_25 Depth=1
	v_lshlrev_b64 v[2:3], 4, v[42:43]
	v_lshl_add_u64 v[4:5], s[18:19], 0, v[2:3]
	v_lshl_add_u64 v[2:3], s[16:17], 0, v[2:3]
	global_load_dwordx4 v[22:25], v[2:3], off
	global_load_dwordx4 v[34:37], v[4:5], off
.LBB26_27:                              ;   in Loop: Header=BB26_25 Depth=1
	s_or_b64 exec, exec, s[4:5]
	v_lshl_add_u64 v[44:45], v[42:43], 0, s[22:23]
	v_cmp_gt_u64_e64 s[4:5], s[26:27], v[44:45]
	v_mov_b64_e32 v[6:7], 0
	v_mov_b64_e32 v[20:21], 0
	;; [unrolled: 1-line block ×3, first 2 shown]
	s_and_saveexec_b64 s[6:7], s[4:5]
	s_cbranch_execz .LBB26_29
; %bb.28:                               ;   in Loop: Header=BB26_25 Depth=1
	v_lshlrev_b64 v[2:3], 4, v[44:45]
	v_lshl_add_u64 v[4:5], s[18:19], 0, v[2:3]
	v_lshl_add_u64 v[2:3], s[16:17], 0, v[2:3]
	global_load_dwordx4 v[18:21], v[2:3], off
	global_load_dwordx4 v[6:9], v[4:5], off
.LBB26_29:                              ;   in Loop: Header=BB26_25 Depth=1
	s_or_b64 exec, exec, s[6:7]
	v_lshl_add_u64 v[46:47], v[42:43], 0, s[28:29]
	v_cmp_gt_u64_e64 s[6:7], s[26:27], v[46:47]
	v_mov_b64_e32 v[4:5], 0
	v_mov_b64_e32 v[32:33], 0
	;; [unrolled: 1-line block ×5, first 2 shown]
	s_and_saveexec_b64 s[8:9], s[6:7]
	s_cbranch_execz .LBB26_31
; %bb.30:                               ;   in Loop: Header=BB26_25 Depth=1
	v_lshlrev_b64 v[2:3], 4, v[46:47]
	v_lshl_add_u64 v[10:11], s[18:19], 0, v[2:3]
	v_lshl_add_u64 v[2:3], s[16:17], 0, v[2:3]
	global_load_dwordx4 v[14:17], v[2:3], off
	global_load_dwordx4 v[30:33], v[10:11], off
.LBB26_31:                              ;   in Loop: Header=BB26_25 Depth=1
	s_or_b64 exec, exec, s[8:9]
	v_lshl_add_u64 v[48:49], v[42:43], 0, s[30:31]
	v_cmp_gt_u64_e64 s[8:9], s[26:27], v[48:49]
	v_mov_b64_e32 v[2:3], 0
	v_mov_b64_e32 v[12:13], 0
	;; [unrolled: 1-line block ×3, first 2 shown]
	s_and_saveexec_b64 s[10:11], s[8:9]
	s_cbranch_execz .LBB26_33
; %bb.32:                               ;   in Loop: Header=BB26_25 Depth=1
	v_lshlrev_b64 v[2:3], 4, v[48:49]
	v_lshl_add_u64 v[28:29], s[16:17], 0, v[2:3]
	v_lshl_add_u64 v[26:27], s[18:19], 0, v[2:3]
	global_load_dwordx4 v[10:13], v[28:29], off
	global_load_dwordx4 v[2:5], v[26:27], off
.LBB26_33:                              ;   in Loop: Header=BB26_25 Depth=1
	s_or_b64 exec, exec, s[10:11]
	s_waitcnt vmcnt(0)
	v_add_f64 v[52:53], v[34:35], -v[22:23]
	v_add_f64 v[50:51], v[36:37], -v[24:25]
	s_mov_b64 s[10:11], -1
	s_and_b64 vcc, exec, s[0:1]
                                        ; implicit-def: $vgpr28_vgpr29
	s_cbranch_vccz .LBB26_35
; %bb.34:                               ;   in Loop: Header=BB26_25 Depth=1
	v_mul_f64 v[26:27], v[40:41], v[50:51]
	v_mul_f64 v[28:29], v[40:41], v[52:53]
	v_fma_f64 v[26:27], v[38:39], v[52:53], -v[26:27]
	v_fmac_f64_e32 v[28:29], v[38:39], v[50:51]
	v_add_f64 v[26:27], v[34:35], -v[26:27]
	v_add_f64 v[28:29], v[36:37], -v[28:29]
	s_mov_b64 s[10:11], 0
.LBB26_35:                              ;   in Loop: Header=BB26_25 Depth=1
	s_andn2_b64 vcc, exec, s[10:11]
	s_cbranch_vccnz .LBB26_37
; %bb.36:                               ;   in Loop: Header=BB26_25 Depth=1
	v_mul_f64 v[26:27], s[14:15], v[50:51]
	v_mul_f64 v[28:29], s[14:15], v[52:53]
	v_fma_f64 v[26:27], s[12:13], v[52:53], -v[26:27]
	v_fmac_f64_e32 v[28:29], s[12:13], v[50:51]
	v_add_f64 v[26:27], v[22:23], v[26:27]
	v_add_f64 v[28:29], v[24:25], v[28:29]
.LBB26_37:                              ;   in Loop: Header=BB26_25 Depth=1
	v_cndmask_b32_e64 v22, 0, 1, s[0:1]
	v_add_f64 v[36:37], v[6:7], -v[18:19]
	v_add_f64 v[34:35], v[8:9], -v[20:21]
	v_cmp_ne_u32_e64 s[10:11], 1, v22
	s_andn2_b64 vcc, exec, s[0:1]
	s_mov_b64 s[36:37], -1
                                        ; implicit-def: $vgpr24_vgpr25
	s_cbranch_vccnz .LBB26_39
; %bb.38:                               ;   in Loop: Header=BB26_25 Depth=1
	v_mul_f64 v[22:23], v[40:41], v[34:35]
	v_mul_f64 v[24:25], v[40:41], v[36:37]
	v_fma_f64 v[22:23], v[38:39], v[36:37], -v[22:23]
	v_fmac_f64_e32 v[24:25], v[38:39], v[34:35]
	v_add_f64 v[22:23], v[6:7], -v[22:23]
	v_add_f64 v[24:25], v[8:9], -v[24:25]
	s_mov_b64 s[36:37], 0
.LBB26_39:                              ;   in Loop: Header=BB26_25 Depth=1
	s_andn2_b64 vcc, exec, s[36:37]
	s_cbranch_vccnz .LBB26_41
; %bb.40:                               ;   in Loop: Header=BB26_25 Depth=1
	v_mul_f64 v[6:7], s[14:15], v[34:35]
	v_mul_f64 v[8:9], s[14:15], v[36:37]
	v_fma_f64 v[6:7], s[12:13], v[36:37], -v[6:7]
	v_fmac_f64_e32 v[8:9], s[12:13], v[34:35]
	v_add_f64 v[22:23], v[18:19], v[6:7]
	v_add_f64 v[24:25], v[20:21], v[8:9]
.LBB26_41:                              ;   in Loop: Header=BB26_25 Depth=1
	v_add_f64 v[20:21], v[30:31], -v[14:15]
	v_add_f64 v[18:19], v[32:33], -v[16:17]
	s_and_b64 vcc, exec, s[10:11]
	s_mov_b64 s[36:37], -1
                                        ; implicit-def: $vgpr8_vgpr9
	s_cbranch_vccnz .LBB26_43
; %bb.42:                               ;   in Loop: Header=BB26_25 Depth=1
	v_mul_f64 v[6:7], v[40:41], v[18:19]
	v_mul_f64 v[8:9], v[40:41], v[20:21]
	v_fma_f64 v[6:7], v[38:39], v[20:21], -v[6:7]
	v_fmac_f64_e32 v[8:9], v[38:39], v[18:19]
	v_add_f64 v[6:7], v[30:31], -v[6:7]
	v_add_f64 v[8:9], v[32:33], -v[8:9]
	s_mov_b64 s[36:37], 0
.LBB26_43:                              ;   in Loop: Header=BB26_25 Depth=1
	s_andn2_b64 vcc, exec, s[36:37]
	s_cbranch_vccnz .LBB26_45
; %bb.44:                               ;   in Loop: Header=BB26_25 Depth=1
	v_mul_f64 v[6:7], s[14:15], v[18:19]
	v_mul_f64 v[8:9], s[14:15], v[20:21]
	v_fma_f64 v[6:7], s[12:13], v[20:21], -v[6:7]
	v_fmac_f64_e32 v[8:9], s[12:13], v[18:19]
	v_add_f64 v[6:7], v[14:15], v[6:7]
	v_add_f64 v[8:9], v[16:17], v[8:9]
.LBB26_45:                              ;   in Loop: Header=BB26_25 Depth=1
	v_add_f64 v[20:21], v[2:3], -v[10:11]
	v_add_f64 v[18:19], v[4:5], -v[12:13]
	s_and_b64 vcc, exec, s[10:11]
	s_mov_b64 s[10:11], -1
                                        ; implicit-def: $vgpr16_vgpr17
	s_cbranch_vccz .LBB26_51
; %bb.46:                               ;   in Loop: Header=BB26_25 Depth=1
	s_andn2_b64 vcc, exec, s[10:11]
	s_cbranch_vccz .LBB26_52
.LBB26_47:                              ;   in Loop: Header=BB26_25 Depth=1
	s_and_saveexec_b64 s[10:11], s[2:3]
	s_xor_b64 s[2:3], exec, s[10:11]
	s_cbranch_execnz .LBB26_53
.LBB26_48:                              ;   in Loop: Header=BB26_25 Depth=1
	s_or_b64 exec, exec, s[2:3]
	s_and_saveexec_b64 s[2:3], s[4:5]
	s_cbranch_execnz .LBB26_54
.LBB26_49:                              ;   in Loop: Header=BB26_25 Depth=1
	s_or_b64 exec, exec, s[2:3]
	s_and_saveexec_b64 s[2:3], s[6:7]
	s_cbranch_execnz .LBB26_55
.LBB26_50:                              ;   in Loop: Header=BB26_25 Depth=1
	s_or_b64 exec, exec, s[2:3]
	s_and_saveexec_b64 s[2:3], s[8:9]
	s_cbranch_execz .LBB26_24
	s_branch .LBB26_56
.LBB26_51:                              ;   in Loop: Header=BB26_25 Depth=1
	v_mul_f64 v[14:15], v[40:41], v[18:19]
	v_mul_f64 v[16:17], v[40:41], v[20:21]
	v_fma_f64 v[14:15], v[38:39], v[20:21], -v[14:15]
	v_fmac_f64_e32 v[16:17], v[38:39], v[18:19]
	v_add_f64 v[14:15], v[2:3], -v[14:15]
	v_add_f64 v[16:17], v[4:5], -v[16:17]
	s_cbranch_execnz .LBB26_47
.LBB26_52:                              ;   in Loop: Header=BB26_25 Depth=1
	v_mul_f64 v[2:3], s[14:15], v[18:19]
	v_mul_f64 v[4:5], s[14:15], v[20:21]
	v_fma_f64 v[2:3], s[12:13], v[20:21], -v[2:3]
	v_fmac_f64_e32 v[4:5], s[12:13], v[18:19]
	v_add_f64 v[14:15], v[10:11], v[2:3]
	v_add_f64 v[16:17], v[12:13], v[4:5]
	s_and_saveexec_b64 s[10:11], s[2:3]
	s_xor_b64 s[2:3], exec, s[10:11]
	s_cbranch_execz .LBB26_48
.LBB26_53:                              ;   in Loop: Header=BB26_25 Depth=1
	v_lshl_add_u64 v[2:3], v[42:43], 4, s[20:21]
	global_store_dwordx4 v[2:3], v[26:29], off
	s_or_b64 exec, exec, s[2:3]
	s_and_saveexec_b64 s[2:3], s[4:5]
	s_cbranch_execz .LBB26_49
.LBB26_54:                              ;   in Loop: Header=BB26_25 Depth=1
	v_lshl_add_u64 v[2:3], v[44:45], 4, s[20:21]
	global_store_dwordx4 v[2:3], v[22:25], off
	s_or_b64 exec, exec, s[2:3]
	s_and_saveexec_b64 s[2:3], s[6:7]
	s_cbranch_execz .LBB26_50
.LBB26_55:                              ;   in Loop: Header=BB26_25 Depth=1
	v_lshl_add_u64 v[2:3], v[46:47], 4, s[20:21]
	global_store_dwordx4 v[2:3], v[6:9], off
	s_or_b64 exec, exec, s[2:3]
	s_and_saveexec_b64 s[2:3], s[8:9]
	s_cbranch_execz .LBB26_24
.LBB26_56:                              ;   in Loop: Header=BB26_25 Depth=1
	v_lshl_add_u64 v[2:3], v[48:49], 4, s[20:21]
	global_store_dwordx4 v[2:3], v[14:17], off
	s_branch .LBB26_24
.LBB26_57:
	s_endpgm
	.section	.rodata,"a",@progbits
	.p2align	6, 0x0
	.amdhsa_kernel _ZN2at6native12_GLOBAL__N_125multi_tensor_apply_kernelINS1_28TensorListScalarListMetadataIN3c107complexIdEELi3EEENS1_26TernaryOpScalarListFunctorIS6_Li3ELi2ELi2EEEJNS0_11LerpFunctorIS6_EEEEEvT_T0_DpT1_
		.amdhsa_group_segment_fixed_size 0
		.amdhsa_private_segment_fixed_size 0
		.amdhsa_kernarg_size 4168
		.amdhsa_user_sgpr_count 2
		.amdhsa_user_sgpr_dispatch_ptr 0
		.amdhsa_user_sgpr_queue_ptr 0
		.amdhsa_user_sgpr_kernarg_segment_ptr 1
		.amdhsa_user_sgpr_dispatch_id 0
		.amdhsa_user_sgpr_kernarg_preload_length 0
		.amdhsa_user_sgpr_kernarg_preload_offset 0
		.amdhsa_user_sgpr_private_segment_size 0
		.amdhsa_uses_dynamic_stack 0
		.amdhsa_enable_private_segment 0
		.amdhsa_system_sgpr_workgroup_id_x 1
		.amdhsa_system_sgpr_workgroup_id_y 0
		.amdhsa_system_sgpr_workgroup_id_z 0
		.amdhsa_system_sgpr_workgroup_info 0
		.amdhsa_system_vgpr_workitem_id 0
		.amdhsa_next_free_vgpr 54
		.amdhsa_next_free_sgpr 38
		.amdhsa_accum_offset 56
		.amdhsa_reserve_vcc 1
		.amdhsa_float_round_mode_32 0
		.amdhsa_float_round_mode_16_64 0
		.amdhsa_float_denorm_mode_32 3
		.amdhsa_float_denorm_mode_16_64 3
		.amdhsa_dx10_clamp 1
		.amdhsa_ieee_mode 1
		.amdhsa_fp16_overflow 0
		.amdhsa_tg_split 0
		.amdhsa_exception_fp_ieee_invalid_op 0
		.amdhsa_exception_fp_denorm_src 0
		.amdhsa_exception_fp_ieee_div_zero 0
		.amdhsa_exception_fp_ieee_overflow 0
		.amdhsa_exception_fp_ieee_underflow 0
		.amdhsa_exception_fp_ieee_inexact 0
		.amdhsa_exception_int_div_zero 0
	.end_amdhsa_kernel
	.section	.text._ZN2at6native12_GLOBAL__N_125multi_tensor_apply_kernelINS1_28TensorListScalarListMetadataIN3c107complexIdEELi3EEENS1_26TernaryOpScalarListFunctorIS6_Li3ELi2ELi2EEEJNS0_11LerpFunctorIS6_EEEEEvT_T0_DpT1_,"axG",@progbits,_ZN2at6native12_GLOBAL__N_125multi_tensor_apply_kernelINS1_28TensorListScalarListMetadataIN3c107complexIdEELi3EEENS1_26TernaryOpScalarListFunctorIS6_Li3ELi2ELi2EEEJNS0_11LerpFunctorIS6_EEEEEvT_T0_DpT1_,comdat
.Lfunc_end26:
	.size	_ZN2at6native12_GLOBAL__N_125multi_tensor_apply_kernelINS1_28TensorListScalarListMetadataIN3c107complexIdEELi3EEENS1_26TernaryOpScalarListFunctorIS6_Li3ELi2ELi2EEEJNS0_11LerpFunctorIS6_EEEEEvT_T0_DpT1_, .Lfunc_end26-_ZN2at6native12_GLOBAL__N_125multi_tensor_apply_kernelINS1_28TensorListScalarListMetadataIN3c107complexIdEELi3EEENS1_26TernaryOpScalarListFunctorIS6_Li3ELi2ELi2EEEJNS0_11LerpFunctorIS6_EEEEEvT_T0_DpT1_
                                        ; -- End function
	.set _ZN2at6native12_GLOBAL__N_125multi_tensor_apply_kernelINS1_28TensorListScalarListMetadataIN3c107complexIdEELi3EEENS1_26TernaryOpScalarListFunctorIS6_Li3ELi2ELi2EEEJNS0_11LerpFunctorIS6_EEEEEvT_T0_DpT1_.num_vgpr, 54
	.set _ZN2at6native12_GLOBAL__N_125multi_tensor_apply_kernelINS1_28TensorListScalarListMetadataIN3c107complexIdEELi3EEENS1_26TernaryOpScalarListFunctorIS6_Li3ELi2ELi2EEEJNS0_11LerpFunctorIS6_EEEEEvT_T0_DpT1_.num_agpr, 0
	.set _ZN2at6native12_GLOBAL__N_125multi_tensor_apply_kernelINS1_28TensorListScalarListMetadataIN3c107complexIdEELi3EEENS1_26TernaryOpScalarListFunctorIS6_Li3ELi2ELi2EEEJNS0_11LerpFunctorIS6_EEEEEvT_T0_DpT1_.numbered_sgpr, 38
	.set _ZN2at6native12_GLOBAL__N_125multi_tensor_apply_kernelINS1_28TensorListScalarListMetadataIN3c107complexIdEELi3EEENS1_26TernaryOpScalarListFunctorIS6_Li3ELi2ELi2EEEJNS0_11LerpFunctorIS6_EEEEEvT_T0_DpT1_.num_named_barrier, 0
	.set _ZN2at6native12_GLOBAL__N_125multi_tensor_apply_kernelINS1_28TensorListScalarListMetadataIN3c107complexIdEELi3EEENS1_26TernaryOpScalarListFunctorIS6_Li3ELi2ELi2EEEJNS0_11LerpFunctorIS6_EEEEEvT_T0_DpT1_.private_seg_size, 0
	.set _ZN2at6native12_GLOBAL__N_125multi_tensor_apply_kernelINS1_28TensorListScalarListMetadataIN3c107complexIdEELi3EEENS1_26TernaryOpScalarListFunctorIS6_Li3ELi2ELi2EEEJNS0_11LerpFunctorIS6_EEEEEvT_T0_DpT1_.uses_vcc, 1
	.set _ZN2at6native12_GLOBAL__N_125multi_tensor_apply_kernelINS1_28TensorListScalarListMetadataIN3c107complexIdEELi3EEENS1_26TernaryOpScalarListFunctorIS6_Li3ELi2ELi2EEEJNS0_11LerpFunctorIS6_EEEEEvT_T0_DpT1_.uses_flat_scratch, 0
	.set _ZN2at6native12_GLOBAL__N_125multi_tensor_apply_kernelINS1_28TensorListScalarListMetadataIN3c107complexIdEELi3EEENS1_26TernaryOpScalarListFunctorIS6_Li3ELi2ELi2EEEJNS0_11LerpFunctorIS6_EEEEEvT_T0_DpT1_.has_dyn_sized_stack, 0
	.set _ZN2at6native12_GLOBAL__N_125multi_tensor_apply_kernelINS1_28TensorListScalarListMetadataIN3c107complexIdEELi3EEENS1_26TernaryOpScalarListFunctorIS6_Li3ELi2ELi2EEEJNS0_11LerpFunctorIS6_EEEEEvT_T0_DpT1_.has_recursion, 0
	.set _ZN2at6native12_GLOBAL__N_125multi_tensor_apply_kernelINS1_28TensorListScalarListMetadataIN3c107complexIdEELi3EEENS1_26TernaryOpScalarListFunctorIS6_Li3ELi2ELi2EEEJNS0_11LerpFunctorIS6_EEEEEvT_T0_DpT1_.has_indirect_call, 0
	.section	.AMDGPU.csdata,"",@progbits
; Kernel info:
; codeLenInByte = 2344
; TotalNumSgprs: 44
; NumVgprs: 54
; NumAgprs: 0
; TotalNumVgprs: 54
; ScratchSize: 0
; MemoryBound: 1
; FloatMode: 240
; IeeeMode: 1
; LDSByteSize: 0 bytes/workgroup (compile time only)
; SGPRBlocks: 5
; VGPRBlocks: 6
; NumSGPRsForWavesPerEU: 44
; NumVGPRsForWavesPerEU: 54
; AccumOffset: 56
; Occupancy: 8
; WaveLimiterHint : 0
; COMPUTE_PGM_RSRC2:SCRATCH_EN: 0
; COMPUTE_PGM_RSRC2:USER_SGPR: 2
; COMPUTE_PGM_RSRC2:TRAP_HANDLER: 0
; COMPUTE_PGM_RSRC2:TGID_X_EN: 1
; COMPUTE_PGM_RSRC2:TGID_Y_EN: 0
; COMPUTE_PGM_RSRC2:TGID_Z_EN: 0
; COMPUTE_PGM_RSRC2:TIDIG_COMP_CNT: 0
; COMPUTE_PGM_RSRC3_GFX90A:ACCUM_OFFSET: 13
; COMPUTE_PGM_RSRC3_GFX90A:TG_SPLIT: 0
	.section	.text._ZN2at6native12_GLOBAL__N_125multi_tensor_apply_kernelINS1_28TensorListScalarListMetadataIN3c107complexIfEELi3EEENS1_26TernaryOpScalarListFunctorIS6_Li3ELi2ELi2EEEJNS0_11LerpFunctorIS6_EEEEEvT_T0_DpT1_,"axG",@progbits,_ZN2at6native12_GLOBAL__N_125multi_tensor_apply_kernelINS1_28TensorListScalarListMetadataIN3c107complexIfEELi3EEENS1_26TernaryOpScalarListFunctorIS6_Li3ELi2ELi2EEEJNS0_11LerpFunctorIS6_EEEEEvT_T0_DpT1_,comdat
	.globl	_ZN2at6native12_GLOBAL__N_125multi_tensor_apply_kernelINS1_28TensorListScalarListMetadataIN3c107complexIfEELi3EEENS1_26TernaryOpScalarListFunctorIS6_Li3ELi2ELi2EEEJNS0_11LerpFunctorIS6_EEEEEvT_T0_DpT1_ ; -- Begin function _ZN2at6native12_GLOBAL__N_125multi_tensor_apply_kernelINS1_28TensorListScalarListMetadataIN3c107complexIfEELi3EEENS1_26TernaryOpScalarListFunctorIS6_Li3ELi2ELi2EEEJNS0_11LerpFunctorIS6_EEEEEvT_T0_DpT1_
	.p2align	8
	.type	_ZN2at6native12_GLOBAL__N_125multi_tensor_apply_kernelINS1_28TensorListScalarListMetadataIN3c107complexIfEELi3EEENS1_26TernaryOpScalarListFunctorIS6_Li3ELi2ELi2EEEJNS0_11LerpFunctorIS6_EEEEEvT_T0_DpT1_,@function
_ZN2at6native12_GLOBAL__N_125multi_tensor_apply_kernelINS1_28TensorListScalarListMetadataIN3c107complexIfEELi3EEENS1_26TernaryOpScalarListFunctorIS6_Li3ELi2ELi2EEEJNS0_11LerpFunctorIS6_EEEEEvT_T0_DpT1_: ; @_ZN2at6native12_GLOBAL__N_125multi_tensor_apply_kernelINS1_28TensorListScalarListMetadataIN3c107complexIfEELi3EEENS1_26TernaryOpScalarListFunctorIS6_Li3ELi2ELi2EEEJNS0_11LerpFunctorIS6_EEEEEvT_T0_DpT1_
; %bb.0:
	v_mov_b32_e32 v1, s2
	global_load_ubyte v1, v1, s[0:1] offset:1920
	s_add_u32 s4, s0, s2
	s_mul_hi_u32 s5, s2, 3
	s_mul_i32 s2, s2, 3
	s_addc_u32 s6, s1, 0
	s_add_u32 s4, s4, s2
	s_addc_u32 s5, s6, s5
	s_load_dword s4, s[4:5], 0x8c0
	s_mov_b32 s3, 0
	s_mov_b32 s25, s3
	s_waitcnt lgkmcnt(0)
	s_ashr_i32 s5, s4, 31
	s_lshl_b64 s[14:15], s[4:5], 19
	s_waitcnt vmcnt(0)
	v_readfirstlane_b32 s2, v1
	s_lshl_b32 s2, s2, 3
	s_load_dwordx2 s[12:13], s[0:1], s2 offset:0x600
	s_load_dwordx2 s[6:7], s[0:1], s2 offset:0x0
	;; [unrolled: 1-line block ×5, first 2 shown]
	s_waitcnt lgkmcnt(0)
	s_add_u32 s16, s6, s14
	s_addc_u32 s17, s7, s15
	s_add_u32 s20, s10, s14
	s_addc_u32 s21, s11, s15
	;; [unrolled: 2-line block ×3, first 2 shown]
	s_or_b32 s18, s22, s20
	s_lshl_b64 s[4:5], s[4:5], 16
	s_and_b32 s2, s16, 31
	s_and_b32 s18, s18, 31
	s_cmp_lg_u32 s18, 0
	s_cselect_b64 s[28:29], -1, 0
	s_sub_u32 s18, s26, s4
	s_subb_u32 s19, s27, s5
	s_and_b32 s24, s26, 3
	s_or_b64 s[2:3], s[2:3], s[24:25]
	s_cmp_lg_u64 s[2:3], 0
	s_cselect_b64 s[2:3], -1, 0
	s_or_b64 s[2:3], s[28:29], s[2:3]
	s_andn2_b64 vcc, exec, s[2:3]
	s_mov_b64 s[2:3], -1
	s_cbranch_vccz .LBB27_21
; %bb.1:
	v_mov_b64_e32 v[2:3], 0x10000
	v_cmp_lt_i64_e32 vcc, s[18:19], v[2:3]
	s_and_b64 s[2:3], vcc, exec
	v_mov_b32_e32 v23, 0
	s_cselect_b32 s25, s19, 0
	s_cselect_b32 s24, s18, 0x10000
	v_lshlrev_b32_e32 v22, 2, v0
	v_cmp_gt_i64_e32 vcc, s[24:25], v[22:23]
	s_and_saveexec_b64 s[26:27], vcc
	s_cbranch_execz .LBB27_20
; %bb.2:
	s_load_dword s2, s[0:1], 0xdd4
	v_pk_mul_f32 v[2:3], s[12:13], s[12:13]
	s_mov_b32 s3, 0x3e800000
	v_add_f32_e32 v2, v2, v3
	v_mov_b32_e32 v22, 1.0
	s_waitcnt lgkmcnt(0)
	s_and_b32 s28, s2, 0xffff
	v_cmp_ngt_f32_e64 s[2:3], s3, v2
	v_mov_b32_e32 v1, v23
	v_pk_add_f32 v[24:25], s[12:13], v[22:23] neg_lo:[1,0] neg_hi:[1,0]
	v_cndmask_b32_e64 v2, 0, 1, s[2:3]
	s_mov_b32 s29, 0
	v_mov_b32_e32 v26, v25
	v_mov_b32_e32 v27, v24
	s_mov_b32 s30, s13
	s_mov_b32 s31, s12
	v_lshlrev_b32_e32 v22, 5, v0
	s_lshl_b32 s33, s28, 5
	s_mov_b64 s[34:35], 0
	v_cmp_ne_u32_e64 s[4:5], 1, v2
	v_mov_b64_e32 v[28:29], v[0:1]
	s_branch .LBB27_4
.LBB27_3:                               ;   in Loop: Header=BB27_4 Depth=1
	v_lshl_add_u64 v[2:3], s[22:23], 0, v[22:23]
	s_add_u32 s22, s22, s33
	s_addc_u32 s23, s23, 0
	s_add_u32 s16, s16, s33
	v_lshl_add_u64 v[28:29], v[28:29], 0, s[28:29]
	s_addc_u32 s17, s17, 0
	v_lshlrev_b64 v[4:5], 2, v[28:29]
	s_add_u32 s20, s20, s33
	s_addc_u32 s21, s21, 0
	v_cmp_le_i64_e32 vcc, s[24:25], v[4:5]
	s_or_b64 s[34:35], vcc, s[34:35]
	global_store_dwordx4 v[2:3], v[6:9], off
	global_store_dwordx4 v[2:3], v[14:17], off offset:16
	s_andn2_b64 exec, exec, s[34:35]
	s_cbranch_execz .LBB27_20
.LBB27_4:                               ; =>This Inner Loop Header: Depth=1
	v_lshl_add_u64 v[8:9], s[20:21], 0, v[22:23]
	v_lshl_add_u64 v[6:7], s[16:17], 0, v[22:23]
	global_load_dwordx4 v[18:21], v[8:9], off
	global_load_dwordx4 v[14:17], v[6:7], off
	global_load_dwordx4 v[2:5], v[6:7], off offset:16
	global_load_dwordx4 v[10:13], v[8:9], off offset:16
	s_mov_b64 s[36:37], -1
	s_and_b64 vcc, exec, s[2:3]
                                        ; implicit-def: $vgpr6_vgpr7
	s_waitcnt vmcnt(2)
	v_pk_add_f32 v[8:9], v[18:19], v[14:15] neg_lo:[0,1] neg_hi:[0,1]
	s_cbranch_vccz .LBB27_8
; %bb.5:                                ;   in Loop: Header=BB27_4 Depth=1
	v_pk_mul_f32 v[6:7], v[26:27], v[8:9] op_sel:[0,1]
	s_nop 0
	v_pk_fma_f32 v[30:31], v[24:25], v[8:9], v[6:7] neg_lo:[0,0,1] neg_hi:[0,0,1]
	v_pk_fma_f32 v[6:7], v[24:25], v[8:9], v[6:7] op_sel_hi:[1,0,1]
	s_nop 0
	v_mov_b32_e32 v31, v7
	v_pk_add_f32 v[6:7], v[18:19], v[30:31] neg_lo:[0,1] neg_hi:[0,1]
	s_cbranch_execz .LBB27_9
.LBB27_6:                               ;   in Loop: Header=BB27_4 Depth=1
	v_pk_add_f32 v[14:15], v[20:21], v[16:17] neg_lo:[0,1] neg_hi:[0,1]
	s_and_b64 vcc, exec, s[4:5]
	s_mov_b64 s[36:37], -1
	s_cbranch_vccnz .LBB27_10
.LBB27_7:                               ;   in Loop: Header=BB27_4 Depth=1
	v_pk_mul_f32 v[8:9], v[26:27], v[14:15] op_sel:[0,1]
	s_nop 0
	v_pk_fma_f32 v[18:19], v[24:25], v[14:15], v[8:9] neg_lo:[0,0,1] neg_hi:[0,0,1]
	v_pk_fma_f32 v[8:9], v[24:25], v[14:15], v[8:9] op_sel_hi:[1,0,1]
	s_nop 0
	v_mov_b32_e32 v19, v9
	v_pk_add_f32 v[8:9], v[20:21], v[18:19] neg_lo:[0,1] neg_hi:[0,1]
	s_cbranch_execnz .LBB27_12
	s_branch .LBB27_11
.LBB27_8:                               ;   in Loop: Header=BB27_4 Depth=1
	s_andn2_b64 vcc, exec, s[36:37]
	s_cbranch_vccnz .LBB27_6
.LBB27_9:                               ;   in Loop: Header=BB27_4 Depth=1
	v_pk_mul_f32 v[6:7], v[8:9], s[30:31] op_sel:[1,0]
	s_nop 0
	v_pk_fma_f32 v[18:19], v[8:9], s[12:13], v[6:7] neg_lo:[0,0,1] neg_hi:[0,0,1]
	v_pk_fma_f32 v[6:7], v[8:9], s[12:13], v[6:7] op_sel_hi:[0,1,1]
	v_mov_b32_e32 v19, v7
	v_pk_add_f32 v[6:7], v[14:15], v[18:19]
	v_pk_add_f32 v[14:15], v[20:21], v[16:17] neg_lo:[0,1] neg_hi:[0,1]
	s_and_b64 vcc, exec, s[4:5]
	s_mov_b64 s[36:37], -1
	s_cbranch_vccz .LBB27_7
.LBB27_10:                              ;   in Loop: Header=BB27_4 Depth=1
	s_andn2_b64 vcc, exec, s[36:37]
	s_cbranch_vccnz .LBB27_12
.LBB27_11:                              ;   in Loop: Header=BB27_4 Depth=1
	v_pk_mul_f32 v[8:9], v[14:15], s[30:31] op_sel:[1,0]
	s_nop 0
	v_pk_fma_f32 v[18:19], v[14:15], s[12:13], v[8:9] neg_lo:[0,0,1] neg_hi:[0,0,1]
	v_pk_fma_f32 v[8:9], v[14:15], s[12:13], v[8:9] op_sel_hi:[0,1,1]
	v_mov_b32_e32 v19, v9
	v_pk_add_f32 v[8:9], v[16:17], v[18:19]
.LBB27_12:                              ;   in Loop: Header=BB27_4 Depth=1
	s_waitcnt vmcnt(0)
	v_pk_add_f32 v[16:17], v[10:11], v[2:3] neg_lo:[0,1] neg_hi:[0,1]
	s_and_b64 vcc, exec, s[4:5]
	s_mov_b64 s[36:37], -1
                                        ; implicit-def: $vgpr14_vgpr15
	s_cbranch_vccnz .LBB27_16
; %bb.13:                               ;   in Loop: Header=BB27_4 Depth=1
	v_pk_mul_f32 v[14:15], v[26:27], v[16:17] op_sel:[0,1]
	s_nop 0
	v_pk_fma_f32 v[18:19], v[24:25], v[16:17], v[14:15] neg_lo:[0,0,1] neg_hi:[0,0,1]
	v_pk_fma_f32 v[14:15], v[24:25], v[16:17], v[14:15] op_sel_hi:[1,0,1]
	s_nop 0
	v_mov_b32_e32 v19, v15
	v_pk_add_f32 v[14:15], v[10:11], v[18:19] neg_lo:[0,1] neg_hi:[0,1]
	s_cbranch_execz .LBB27_17
.LBB27_14:                              ;   in Loop: Header=BB27_4 Depth=1
	v_pk_add_f32 v[2:3], v[12:13], v[4:5] neg_lo:[0,1] neg_hi:[0,1]
	s_and_b64 vcc, exec, s[4:5]
	s_mov_b64 s[36:37], -1
	s_cbranch_vccnz .LBB27_18
.LBB27_15:                              ;   in Loop: Header=BB27_4 Depth=1
	v_pk_mul_f32 v[10:11], v[26:27], v[2:3] op_sel:[0,1]
	s_nop 0
	v_pk_fma_f32 v[16:17], v[24:25], v[2:3], v[10:11] neg_lo:[0,0,1] neg_hi:[0,0,1]
	v_pk_fma_f32 v[10:11], v[24:25], v[2:3], v[10:11] op_sel_hi:[1,0,1]
	s_nop 0
	v_mov_b32_e32 v17, v11
	v_pk_add_f32 v[16:17], v[12:13], v[16:17] neg_lo:[0,1] neg_hi:[0,1]
	s_cbranch_execnz .LBB27_3
	s_branch .LBB27_19
.LBB27_16:                              ;   in Loop: Header=BB27_4 Depth=1
	s_andn2_b64 vcc, exec, s[36:37]
	s_cbranch_vccnz .LBB27_14
.LBB27_17:                              ;   in Loop: Header=BB27_4 Depth=1
	v_pk_mul_f32 v[10:11], v[16:17], s[30:31] op_sel:[1,0]
	s_nop 0
	v_pk_fma_f32 v[14:15], v[16:17], s[12:13], v[10:11] neg_lo:[0,0,1] neg_hi:[0,0,1]
	v_pk_fma_f32 v[10:11], v[16:17], s[12:13], v[10:11] op_sel_hi:[0,1,1]
	v_mov_b32_e32 v15, v11
	v_pk_add_f32 v[14:15], v[2:3], v[14:15]
	v_pk_add_f32 v[2:3], v[12:13], v[4:5] neg_lo:[0,1] neg_hi:[0,1]
	s_and_b64 vcc, exec, s[4:5]
	s_mov_b64 s[36:37], -1
	s_cbranch_vccz .LBB27_15
.LBB27_18:                              ;   in Loop: Header=BB27_4 Depth=1
	s_andn2_b64 vcc, exec, s[36:37]
	s_cbranch_vccnz .LBB27_3
.LBB27_19:                              ;   in Loop: Header=BB27_4 Depth=1
	v_pk_mul_f32 v[10:11], v[2:3], s[30:31] op_sel:[1,0]
	s_nop 0
	v_pk_fma_f32 v[12:13], v[2:3], s[12:13], v[10:11] neg_lo:[0,0,1] neg_hi:[0,0,1]
	v_pk_fma_f32 v[2:3], v[2:3], s[12:13], v[10:11] op_sel_hi:[0,1,1]
	v_mov_b32_e32 v13, v3
	v_pk_add_f32 v[16:17], v[4:5], v[12:13]
	s_branch .LBB27_3
.LBB27_20:
	s_or_b64 exec, exec, s[26:27]
	s_mov_b64 s[2:3], 0
.LBB27_21:
	s_andn2_b64 vcc, exec, s[2:3]
	s_cbranch_vccnz .LBB27_57
; %bb.22:
	v_cmp_lt_i64_e64 s[2:3], s[18:19], 1
	s_and_b64 vcc, exec, s[2:3]
	s_cbranch_vccnz .LBB27_57
; %bb.23:
	s_load_dword s2, s[0:1], 0xdd4
	v_mov_b64_e32 v[2:3], 0x10000
	v_cmp_lt_i64_e32 vcc, s[18:19], v[2:3]
	s_and_b64 s[0:1], vcc, exec
	s_mov_b32 s3, 0
	s_cselect_b32 s17, s19, 0
	s_cselect_b32 s16, s18, 0x10000
	s_waitcnt lgkmcnt(0)
	s_and_b32 s2, s2, 0xffff
	v_cmp_lt_u64_e32 vcc, s[18:19], v[2:3]
	v_mov_b32_e32 v1, 0
	s_and_b64 s[0:1], vcc, exec
	s_mul_i32 s24, s2, 3
	s_mov_b32 s25, s3
	v_pk_mul_f32 v[2:3], s[12:13], s[12:13]
	s_cselect_b32 s19, s19, 0
	s_cselect_b32 s18, s18, 0x10000
	v_add_f32_e32 v2, v2, v3
	s_mov_b32 s0, 0x3e800000
	v_lshlrev_b32_e32 v20, 3, v0
	v_mov_b32_e32 v21, v1
	v_lshl_add_u64 v[18:19], s[24:25], 0, v[0:1]
	s_lshl_b32 s24, s2, 4
	v_lshl_add_u64 v[28:29], v[0:1], 0, s[2:3]
	s_lshl_b32 s4, s2, 1
	s_mov_b32 s5, s3
	v_cmp_ngt_f32_e64 s[0:1], s0, v2
	v_sub_f32_e64 v2, 1.0, s12
	v_sub_f32_e64 v4, 0, s13
	v_mad_u64_u32 v[16:17], s[26:27], s2, 24, v[20:21]
	v_lshl_add_u64 v[24:25], s[24:25], 0, v[20:21]
	v_lshlrev_b32_e32 v34, 3, v28
	v_mov_b32_e32 v35, v1
	s_lshl_b32 s28, s2, 2
	s_mov_b32 s20, s12
	s_mov_b32 s21, s12
	;; [unrolled: 1-line block ×3, first 2 shown]
	v_mov_b32_e32 v3, v2
	v_mov_b32_e32 v5, v4
	v_lshl_add_u64 v[6:7], s[10:11], 0, v[20:21]
	s_lshl_b32 s22, s2, 5
	s_mov_b32 s23, s3
	v_lshl_add_u64 v[8:9], s[6:7], 0, v[20:21]
	v_lshl_add_u64 v[10:11], s[8:9], 0, v[20:21]
	;; [unrolled: 1-line block ×12, first 2 shown]
	s_mov_b64 s[24:25], 0
	s_branch .LBB27_25
.LBB27_24:                              ;   in Loop: Header=BB27_25 Depth=1
	s_or_b64 exec, exec, s[2:3]
	s_add_u32 s24, s24, s28
	s_addc_u32 s25, s25, 0
	v_mov_b64_e32 v[36:37], s[16:17]
	v_cmp_ge_i64_e32 vcc, s[24:25], v[36:37]
	v_lshl_add_u64 v[6:7], v[6:7], 0, s[22:23]
	v_lshl_add_u64 v[8:9], v[8:9], 0, s[22:23]
	v_lshl_add_u64 v[10:11], v[10:11], 0, s[22:23]
	v_lshl_add_u64 v[12:13], v[12:13], 0, s[22:23]
	v_lshl_add_u64 v[14:15], v[14:15], 0, s[22:23]
	v_lshl_add_u64 v[16:17], v[16:17], 0, s[22:23]
	v_lshl_add_u64 v[20:21], v[20:21], 0, s[22:23]
	v_lshl_add_u64 v[22:23], v[22:23], 0, s[22:23]
	v_lshl_add_u64 v[24:25], v[24:25], 0, s[22:23]
	v_lshl_add_u64 v[30:31], v[30:31], 0, s[22:23]
	v_lshl_add_u64 v[32:33], v[32:33], 0, s[22:23]
	v_lshl_add_u64 v[34:35], v[34:35], 0, s[22:23]
	s_cbranch_vccnz .LBB27_57
.LBB27_25:                              ; =>This Inner Loop Header: Depth=1
	v_lshl_add_u64 v[36:37], v[0:1], 0, s[24:25]
	v_cmp_gt_u64_e64 s[2:3], s[18:19], v[36:37]
	v_mov_b32_e32 v44, 0
	v_mov_b32_e32 v45, 0
	;; [unrolled: 1-line block ×4, first 2 shown]
	s_and_saveexec_b64 s[4:5], s[2:3]
	s_cbranch_execz .LBB27_27
; %bb.26:                               ;   in Loop: Header=BB27_25 Depth=1
	v_lshl_add_u64 v[38:39], v[8:9], 0, s[14:15]
	v_lshl_add_u64 v[36:37], v[6:7], 0, s[14:15]
	global_load_dwordx2 v[44:45], v[38:39], off
	global_load_dwordx2 v[52:53], v[36:37], off
.LBB27_27:                              ;   in Loop: Header=BB27_25 Depth=1
	s_or_b64 exec, exec, s[4:5]
	v_lshl_add_u64 v[36:37], v[28:29], 0, s[24:25]
	v_cmp_gt_u64_e64 s[4:5], s[18:19], v[36:37]
	v_mov_b32_e32 v36, 0
	v_mov_b32_e32 v40, 0
	;; [unrolled: 1-line block ×5, first 2 shown]
	s_and_saveexec_b64 s[6:7], s[4:5]
	s_cbranch_execz .LBB27_29
; %bb.28:                               ;   in Loop: Header=BB27_25 Depth=1
	v_lshl_add_u64 v[42:43], v[32:33], 0, s[14:15]
	v_lshl_add_u64 v[38:39], v[30:31], 0, s[14:15]
	global_load_dwordx2 v[40:41], v[42:43], off
	global_load_dwordx2 v[50:51], v[38:39], off
.LBB27_29:                              ;   in Loop: Header=BB27_25 Depth=1
	s_or_b64 exec, exec, s[6:7]
	v_lshl_add_u64 v[38:39], v[26:27], 0, s[24:25]
	v_cmp_gt_u64_e64 s[6:7], s[18:19], v[38:39]
	v_mov_b32_e32 v37, 0
	v_mov_b32_e32 v46, 0
	;; [unrolled: 1-line block ×3, first 2 shown]
	s_and_saveexec_b64 s[8:9], s[6:7]
	s_cbranch_execz .LBB27_31
; %bb.30:                               ;   in Loop: Header=BB27_25 Depth=1
	v_lshl_add_u64 v[42:43], v[22:23], 0, s[14:15]
	v_lshl_add_u64 v[38:39], v[20:21], 0, s[14:15]
	global_load_dwordx2 v[36:37], v[42:43], off
	global_load_dwordx2 v[46:47], v[38:39], off
.LBB27_31:                              ;   in Loop: Header=BB27_25 Depth=1
	s_or_b64 exec, exec, s[8:9]
	v_lshl_add_u64 v[38:39], v[18:19], 0, s[24:25]
	v_cmp_gt_u64_e64 s[8:9], s[18:19], v[38:39]
	v_mov_b32_e32 v38, 0
	v_mov_b32_e32 v39, v38
	;; [unrolled: 1-line block ×4, first 2 shown]
	s_and_saveexec_b64 s[10:11], s[8:9]
	s_cbranch_execz .LBB27_33
; %bb.32:                               ;   in Loop: Header=BB27_25 Depth=1
	v_lshl_add_u64 v[54:55], v[14:15], 0, s[14:15]
	v_lshl_add_u64 v[48:49], v[12:13], 0, s[14:15]
	global_load_dwordx2 v[38:39], v[54:55], off
	global_load_dwordx2 v[42:43], v[48:49], off
.LBB27_33:                              ;   in Loop: Header=BB27_25 Depth=1
	s_or_b64 exec, exec, s[10:11]
	s_waitcnt vmcnt(0)
	v_pk_add_f32 v[54:55], v[52:53], v[44:45] neg_lo:[0,1] neg_hi:[0,1]
	s_mov_b64 s[10:11], -1
	s_and_b64 vcc, exec, s[0:1]
                                        ; implicit-def: $vgpr48_vgpr49
	s_cbranch_vccz .LBB27_35
; %bb.34:                               ;   in Loop: Header=BB27_25 Depth=1
	v_pk_mul_f32 v[48:49], v[4:5], v[54:55] op_sel:[0,1] op_sel_hi:[1,0]
	s_mov_b64 s[10:11], 0
	v_pk_fma_f32 v[56:57], v[2:3], v[54:55], v[48:49] neg_lo:[0,0,1] neg_hi:[0,0,1]
	v_pk_fma_f32 v[48:49], v[2:3], v[54:55], v[48:49]
	s_nop 0
	v_mov_b32_e32 v57, v49
	v_pk_add_f32 v[48:49], v[52:53], v[56:57] neg_lo:[0,1] neg_hi:[0,1]
.LBB27_35:                              ;   in Loop: Header=BB27_25 Depth=1
	s_andn2_b64 vcc, exec, s[10:11]
	s_cbranch_vccnz .LBB27_37
; %bb.36:                               ;   in Loop: Header=BB27_25 Depth=1
	v_pk_mul_f32 v[48:49], v[54:55], s[12:13] op_sel:[1,0] op_sel_hi:[0,1]
	v_pk_fma_f32 v[52:53], v[54:55], s[20:21], v[48:49] neg_lo:[0,0,1] neg_hi:[0,0,1]
	v_pk_fma_f32 v[48:49], v[54:55], s[20:21], v[48:49]
	s_nop 0
	v_mov_b32_e32 v53, v49
	v_pk_add_f32 v[48:49], v[44:45], v[52:53]
.LBB27_37:                              ;   in Loop: Header=BB27_25 Depth=1
	v_cndmask_b32_e64 v44, 0, 1, s[0:1]
	v_pk_add_f32 v[52:53], v[50:51], v[40:41] neg_lo:[0,1] neg_hi:[0,1]
	v_cmp_ne_u32_e64 s[10:11], 1, v44
	s_andn2_b64 vcc, exec, s[0:1]
	s_mov_b64 s[26:27], -1
                                        ; implicit-def: $vgpr44_vgpr45
	s_cbranch_vccnz .LBB27_39
; %bb.38:                               ;   in Loop: Header=BB27_25 Depth=1
	v_pk_mul_f32 v[44:45], v[4:5], v[52:53] op_sel:[0,1] op_sel_hi:[1,0]
	s_nop 0
	v_pk_fma_f32 v[54:55], v[2:3], v[52:53], v[44:45] neg_lo:[0,0,1] neg_hi:[0,0,1]
	v_pk_fma_f32 v[44:45], v[2:3], v[52:53], v[44:45]
	s_nop 0
	v_mov_b32_e32 v55, v45
	v_pk_add_f32 v[44:45], v[50:51], v[54:55] neg_lo:[0,1] neg_hi:[0,1]
	s_cbranch_execnz .LBB27_41
	s_branch .LBB27_40
.LBB27_39:                              ;   in Loop: Header=BB27_25 Depth=1
	s_andn2_b64 vcc, exec, s[26:27]
	s_cbranch_vccnz .LBB27_41
.LBB27_40:                              ;   in Loop: Header=BB27_25 Depth=1
	v_pk_mul_f32 v[44:45], v[52:53], s[12:13] op_sel:[1,0] op_sel_hi:[0,1]
	v_pk_fma_f32 v[50:51], v[52:53], s[20:21], v[44:45] neg_lo:[0,0,1] neg_hi:[0,0,1]
	v_pk_fma_f32 v[44:45], v[52:53], s[20:21], v[44:45]
	s_nop 0
	v_mov_b32_e32 v51, v45
	v_pk_add_f32 v[44:45], v[40:41], v[50:51]
.LBB27_41:                              ;   in Loop: Header=BB27_25 Depth=1
	v_pk_add_f32 v[50:51], v[46:47], v[36:37] neg_lo:[0,1] neg_hi:[0,1]
	s_and_b64 vcc, exec, s[10:11]
	s_mov_b64 s[26:27], -1
                                        ; implicit-def: $vgpr40_vgpr41
	s_cbranch_vccnz .LBB27_43
; %bb.42:                               ;   in Loop: Header=BB27_25 Depth=1
	v_pk_mul_f32 v[40:41], v[4:5], v[50:51] op_sel:[0,1] op_sel_hi:[1,0]
	s_nop 0
	v_pk_fma_f32 v[52:53], v[2:3], v[50:51], v[40:41] neg_lo:[0,0,1] neg_hi:[0,0,1]
	v_pk_fma_f32 v[40:41], v[2:3], v[50:51], v[40:41]
	s_nop 0
	v_mov_b32_e32 v53, v41
	v_pk_add_f32 v[40:41], v[46:47], v[52:53] neg_lo:[0,1] neg_hi:[0,1]
	s_cbranch_execnz .LBB27_45
	s_branch .LBB27_44
.LBB27_43:                              ;   in Loop: Header=BB27_25 Depth=1
	s_andn2_b64 vcc, exec, s[26:27]
	s_cbranch_vccnz .LBB27_45
.LBB27_44:                              ;   in Loop: Header=BB27_25 Depth=1
	v_pk_mul_f32 v[40:41], v[50:51], s[12:13] op_sel:[1,0] op_sel_hi:[0,1]
	v_pk_fma_f32 v[46:47], v[50:51], s[20:21], v[40:41] neg_lo:[0,0,1] neg_hi:[0,0,1]
	v_pk_fma_f32 v[40:41], v[50:51], s[20:21], v[40:41]
	s_nop 0
	v_mov_b32_e32 v47, v41
	v_pk_add_f32 v[40:41], v[36:37], v[46:47]
.LBB27_45:                              ;   in Loop: Header=BB27_25 Depth=1
	v_pk_add_f32 v[46:47], v[42:43], v[38:39] neg_lo:[0,1] neg_hi:[0,1]
	s_and_b64 vcc, exec, s[10:11]
	s_mov_b64 s[10:11], -1
                                        ; implicit-def: $vgpr36_vgpr37
	s_cbranch_vccnz .LBB27_51
; %bb.46:                               ;   in Loop: Header=BB27_25 Depth=1
	v_pk_mul_f32 v[36:37], v[4:5], v[46:47] op_sel:[0,1] op_sel_hi:[1,0]
	s_nop 0
	v_pk_fma_f32 v[50:51], v[2:3], v[46:47], v[36:37] neg_lo:[0,0,1] neg_hi:[0,0,1]
	v_pk_fma_f32 v[36:37], v[2:3], v[46:47], v[36:37]
	s_nop 0
	v_mov_b32_e32 v51, v37
	v_pk_add_f32 v[36:37], v[42:43], v[50:51] neg_lo:[0,1] neg_hi:[0,1]
	s_cbranch_execz .LBB27_52
.LBB27_47:                              ;   in Loop: Header=BB27_25 Depth=1
	s_and_saveexec_b64 s[10:11], s[2:3]
	s_xor_b64 s[2:3], exec, s[10:11]
	s_cbranch_execz .LBB27_53
.LBB27_48:                              ;   in Loop: Header=BB27_25 Depth=1
	v_lshl_add_u64 v[38:39], v[10:11], 0, s[14:15]
	global_store_dwordx2 v[38:39], v[48:49], off
	s_or_b64 exec, exec, s[2:3]
	s_and_saveexec_b64 s[2:3], s[4:5]
	s_cbranch_execnz .LBB27_54
.LBB27_49:                              ;   in Loop: Header=BB27_25 Depth=1
	s_or_b64 exec, exec, s[2:3]
	s_and_saveexec_b64 s[2:3], s[6:7]
	s_cbranch_execz .LBB27_55
.LBB27_50:                              ;   in Loop: Header=BB27_25 Depth=1
	v_lshl_add_u64 v[38:39], v[24:25], 0, s[14:15]
	global_store_dwordx2 v[38:39], v[40:41], off
	s_or_b64 exec, exec, s[2:3]
	s_and_saveexec_b64 s[2:3], s[8:9]
	s_cbranch_execz .LBB27_24
	s_branch .LBB27_56
.LBB27_51:                              ;   in Loop: Header=BB27_25 Depth=1
	s_andn2_b64 vcc, exec, s[10:11]
	s_cbranch_vccnz .LBB27_47
.LBB27_52:                              ;   in Loop: Header=BB27_25 Depth=1
	v_pk_mul_f32 v[36:37], v[46:47], s[12:13] op_sel:[1,0] op_sel_hi:[0,1]
	v_pk_fma_f32 v[42:43], v[46:47], s[20:21], v[36:37] neg_lo:[0,0,1] neg_hi:[0,0,1]
	v_pk_fma_f32 v[36:37], v[46:47], s[20:21], v[36:37]
	s_nop 0
	v_mov_b32_e32 v43, v37
	v_pk_add_f32 v[36:37], v[38:39], v[42:43]
	s_and_saveexec_b64 s[10:11], s[2:3]
	s_xor_b64 s[2:3], exec, s[10:11]
	s_cbranch_execnz .LBB27_48
.LBB27_53:                              ;   in Loop: Header=BB27_25 Depth=1
	s_or_b64 exec, exec, s[2:3]
	s_and_saveexec_b64 s[2:3], s[4:5]
	s_cbranch_execz .LBB27_49
.LBB27_54:                              ;   in Loop: Header=BB27_25 Depth=1
	v_lshl_add_u64 v[38:39], v[34:35], 0, s[14:15]
	global_store_dwordx2 v[38:39], v[44:45], off
	s_or_b64 exec, exec, s[2:3]
	s_and_saveexec_b64 s[2:3], s[6:7]
	s_cbranch_execnz .LBB27_50
.LBB27_55:                              ;   in Loop: Header=BB27_25 Depth=1
	s_or_b64 exec, exec, s[2:3]
	s_and_saveexec_b64 s[2:3], s[8:9]
	s_cbranch_execz .LBB27_24
.LBB27_56:                              ;   in Loop: Header=BB27_25 Depth=1
	v_lshl_add_u64 v[38:39], v[16:17], 0, s[14:15]
	global_store_dwordx2 v[38:39], v[36:37], off
	s_branch .LBB27_24
.LBB27_57:
	s_endpgm
	.section	.rodata,"a",@progbits
	.p2align	6, 0x0
	.amdhsa_kernel _ZN2at6native12_GLOBAL__N_125multi_tensor_apply_kernelINS1_28TensorListScalarListMetadataIN3c107complexIfEELi3EEENS1_26TernaryOpScalarListFunctorIS6_Li3ELi2ELi2EEEJNS0_11LerpFunctorIS6_EEEEEvT_T0_DpT1_
		.amdhsa_group_segment_fixed_size 0
		.amdhsa_private_segment_fixed_size 0
		.amdhsa_kernarg_size 3784
		.amdhsa_user_sgpr_count 2
		.amdhsa_user_sgpr_dispatch_ptr 0
		.amdhsa_user_sgpr_queue_ptr 0
		.amdhsa_user_sgpr_kernarg_segment_ptr 1
		.amdhsa_user_sgpr_dispatch_id 0
		.amdhsa_user_sgpr_kernarg_preload_length 0
		.amdhsa_user_sgpr_kernarg_preload_offset 0
		.amdhsa_user_sgpr_private_segment_size 0
		.amdhsa_uses_dynamic_stack 0
		.amdhsa_enable_private_segment 0
		.amdhsa_system_sgpr_workgroup_id_x 1
		.amdhsa_system_sgpr_workgroup_id_y 0
		.amdhsa_system_sgpr_workgroup_id_z 0
		.amdhsa_system_sgpr_workgroup_info 0
		.amdhsa_system_vgpr_workitem_id 0
		.amdhsa_next_free_vgpr 58
		.amdhsa_next_free_sgpr 38
		.amdhsa_accum_offset 60
		.amdhsa_reserve_vcc 1
		.amdhsa_float_round_mode_32 0
		.amdhsa_float_round_mode_16_64 0
		.amdhsa_float_denorm_mode_32 3
		.amdhsa_float_denorm_mode_16_64 3
		.amdhsa_dx10_clamp 1
		.amdhsa_ieee_mode 1
		.amdhsa_fp16_overflow 0
		.amdhsa_tg_split 0
		.amdhsa_exception_fp_ieee_invalid_op 0
		.amdhsa_exception_fp_denorm_src 0
		.amdhsa_exception_fp_ieee_div_zero 0
		.amdhsa_exception_fp_ieee_overflow 0
		.amdhsa_exception_fp_ieee_underflow 0
		.amdhsa_exception_fp_ieee_inexact 0
		.amdhsa_exception_int_div_zero 0
	.end_amdhsa_kernel
	.section	.text._ZN2at6native12_GLOBAL__N_125multi_tensor_apply_kernelINS1_28TensorListScalarListMetadataIN3c107complexIfEELi3EEENS1_26TernaryOpScalarListFunctorIS6_Li3ELi2ELi2EEEJNS0_11LerpFunctorIS6_EEEEEvT_T0_DpT1_,"axG",@progbits,_ZN2at6native12_GLOBAL__N_125multi_tensor_apply_kernelINS1_28TensorListScalarListMetadataIN3c107complexIfEELi3EEENS1_26TernaryOpScalarListFunctorIS6_Li3ELi2ELi2EEEJNS0_11LerpFunctorIS6_EEEEEvT_T0_DpT1_,comdat
.Lfunc_end27:
	.size	_ZN2at6native12_GLOBAL__N_125multi_tensor_apply_kernelINS1_28TensorListScalarListMetadataIN3c107complexIfEELi3EEENS1_26TernaryOpScalarListFunctorIS6_Li3ELi2ELi2EEEJNS0_11LerpFunctorIS6_EEEEEvT_T0_DpT1_, .Lfunc_end27-_ZN2at6native12_GLOBAL__N_125multi_tensor_apply_kernelINS1_28TensorListScalarListMetadataIN3c107complexIfEELi3EEENS1_26TernaryOpScalarListFunctorIS6_Li3ELi2ELi2EEEJNS0_11LerpFunctorIS6_EEEEEvT_T0_DpT1_
                                        ; -- End function
	.set _ZN2at6native12_GLOBAL__N_125multi_tensor_apply_kernelINS1_28TensorListScalarListMetadataIN3c107complexIfEELi3EEENS1_26TernaryOpScalarListFunctorIS6_Li3ELi2ELi2EEEJNS0_11LerpFunctorIS6_EEEEEvT_T0_DpT1_.num_vgpr, 58
	.set _ZN2at6native12_GLOBAL__N_125multi_tensor_apply_kernelINS1_28TensorListScalarListMetadataIN3c107complexIfEELi3EEENS1_26TernaryOpScalarListFunctorIS6_Li3ELi2ELi2EEEJNS0_11LerpFunctorIS6_EEEEEvT_T0_DpT1_.num_agpr, 0
	.set _ZN2at6native12_GLOBAL__N_125multi_tensor_apply_kernelINS1_28TensorListScalarListMetadataIN3c107complexIfEELi3EEENS1_26TernaryOpScalarListFunctorIS6_Li3ELi2ELi2EEEJNS0_11LerpFunctorIS6_EEEEEvT_T0_DpT1_.numbered_sgpr, 38
	.set _ZN2at6native12_GLOBAL__N_125multi_tensor_apply_kernelINS1_28TensorListScalarListMetadataIN3c107complexIfEELi3EEENS1_26TernaryOpScalarListFunctorIS6_Li3ELi2ELi2EEEJNS0_11LerpFunctorIS6_EEEEEvT_T0_DpT1_.num_named_barrier, 0
	.set _ZN2at6native12_GLOBAL__N_125multi_tensor_apply_kernelINS1_28TensorListScalarListMetadataIN3c107complexIfEELi3EEENS1_26TernaryOpScalarListFunctorIS6_Li3ELi2ELi2EEEJNS0_11LerpFunctorIS6_EEEEEvT_T0_DpT1_.private_seg_size, 0
	.set _ZN2at6native12_GLOBAL__N_125multi_tensor_apply_kernelINS1_28TensorListScalarListMetadataIN3c107complexIfEELi3EEENS1_26TernaryOpScalarListFunctorIS6_Li3ELi2ELi2EEEJNS0_11LerpFunctorIS6_EEEEEvT_T0_DpT1_.uses_vcc, 1
	.set _ZN2at6native12_GLOBAL__N_125multi_tensor_apply_kernelINS1_28TensorListScalarListMetadataIN3c107complexIfEELi3EEENS1_26TernaryOpScalarListFunctorIS6_Li3ELi2ELi2EEEJNS0_11LerpFunctorIS6_EEEEEvT_T0_DpT1_.uses_flat_scratch, 0
	.set _ZN2at6native12_GLOBAL__N_125multi_tensor_apply_kernelINS1_28TensorListScalarListMetadataIN3c107complexIfEELi3EEENS1_26TernaryOpScalarListFunctorIS6_Li3ELi2ELi2EEEJNS0_11LerpFunctorIS6_EEEEEvT_T0_DpT1_.has_dyn_sized_stack, 0
	.set _ZN2at6native12_GLOBAL__N_125multi_tensor_apply_kernelINS1_28TensorListScalarListMetadataIN3c107complexIfEELi3EEENS1_26TernaryOpScalarListFunctorIS6_Li3ELi2ELi2EEEJNS0_11LerpFunctorIS6_EEEEEvT_T0_DpT1_.has_recursion, 0
	.set _ZN2at6native12_GLOBAL__N_125multi_tensor_apply_kernelINS1_28TensorListScalarListMetadataIN3c107complexIfEELi3EEENS1_26TernaryOpScalarListFunctorIS6_Li3ELi2ELi2EEEJNS0_11LerpFunctorIS6_EEEEEvT_T0_DpT1_.has_indirect_call, 0
	.section	.AMDGPU.csdata,"",@progbits
; Kernel info:
; codeLenInByte = 2476
; TotalNumSgprs: 44
; NumVgprs: 58
; NumAgprs: 0
; TotalNumVgprs: 58
; ScratchSize: 0
; MemoryBound: 1
; FloatMode: 240
; IeeeMode: 1
; LDSByteSize: 0 bytes/workgroup (compile time only)
; SGPRBlocks: 5
; VGPRBlocks: 7
; NumSGPRsForWavesPerEU: 44
; NumVGPRsForWavesPerEU: 58
; AccumOffset: 60
; Occupancy: 8
; WaveLimiterHint : 1
; COMPUTE_PGM_RSRC2:SCRATCH_EN: 0
; COMPUTE_PGM_RSRC2:USER_SGPR: 2
; COMPUTE_PGM_RSRC2:TRAP_HANDLER: 0
; COMPUTE_PGM_RSRC2:TGID_X_EN: 1
; COMPUTE_PGM_RSRC2:TGID_Y_EN: 0
; COMPUTE_PGM_RSRC2:TGID_Z_EN: 0
; COMPUTE_PGM_RSRC2:TIDIG_COMP_CNT: 0
; COMPUTE_PGM_RSRC3_GFX90A:ACCUM_OFFSET: 14
; COMPUTE_PGM_RSRC3_GFX90A:TG_SPLIT: 0
	.section	.text._ZN2at6native12_GLOBAL__N_125multi_tensor_apply_kernelINS1_28TensorListScalarListMetadataIfLi3EEENS1_26TernaryOpScalarListFunctorIN3c104HalfELi3ELi2ELi2EEEJNS0_11LerpFunctorIfEEEEEvT_T0_DpT1_,"axG",@progbits,_ZN2at6native12_GLOBAL__N_125multi_tensor_apply_kernelINS1_28TensorListScalarListMetadataIfLi3EEENS1_26TernaryOpScalarListFunctorIN3c104HalfELi3ELi2ELi2EEEJNS0_11LerpFunctorIfEEEEEvT_T0_DpT1_,comdat
	.globl	_ZN2at6native12_GLOBAL__N_125multi_tensor_apply_kernelINS1_28TensorListScalarListMetadataIfLi3EEENS1_26TernaryOpScalarListFunctorIN3c104HalfELi3ELi2ELi2EEEJNS0_11LerpFunctorIfEEEEEvT_T0_DpT1_ ; -- Begin function _ZN2at6native12_GLOBAL__N_125multi_tensor_apply_kernelINS1_28TensorListScalarListMetadataIfLi3EEENS1_26TernaryOpScalarListFunctorIN3c104HalfELi3ELi2ELi2EEEJNS0_11LerpFunctorIfEEEEEvT_T0_DpT1_
	.p2align	8
	.type	_ZN2at6native12_GLOBAL__N_125multi_tensor_apply_kernelINS1_28TensorListScalarListMetadataIfLi3EEENS1_26TernaryOpScalarListFunctorIN3c104HalfELi3ELi2ELi2EEEJNS0_11LerpFunctorIfEEEEEvT_T0_DpT1_,@function
_ZN2at6native12_GLOBAL__N_125multi_tensor_apply_kernelINS1_28TensorListScalarListMetadataIfLi3EEENS1_26TernaryOpScalarListFunctorIN3c104HalfELi3ELi2ELi2EEEJNS0_11LerpFunctorIfEEEEEvT_T0_DpT1_: ; @_ZN2at6native12_GLOBAL__N_125multi_tensor_apply_kernelINS1_28TensorListScalarListMetadataIfLi3EEENS1_26TernaryOpScalarListFunctorIN3c104HalfELi3ELi2ELi2EEEJNS0_11LerpFunctorIfEEEEEvT_T0_DpT1_
; %bb.0:
	v_mov_b32_e32 v1, s2
	global_load_ubyte v1, v1, s[0:1] offset:1728
	s_add_u32 s3, s0, s2
	s_mul_i32 s4, s2, 3
	s_addc_u32 s5, s1, 0
	s_mul_hi_u32 s6, s2, 3
	s_add_u32 s2, s3, s4
	s_addc_u32 s3, s5, s6
	s_load_dword s2, s[2:3], 0x800
	s_mov_b32 s13, 0
	s_mov_b32 s17, s13
	v_mov_b32_e32 v3, 0
	s_waitcnt lgkmcnt(0)
	s_ashr_i32 s3, s2, 31
	s_waitcnt vmcnt(0)
	v_readfirstlane_b32 s4, v1
	v_lshlrev_b32_e32 v1, 2, v1
	v_sub_co_u32_e32 v4, vcc, 0, v1
	s_lshl_b32 s8, s4, 3
	s_nop 0
	v_subb_co_u32_e64 v5, s[4:5], 0, 0, vcc
	s_add_u32 s10, s0, s8
	s_load_dwordx2 s[18:19], s[0:1], s8 offset:0x480
	s_load_dwordx2 s[4:5], s[0:1], s8 offset:0x0
	;; [unrolled: 1-line block ×4, first 2 shown]
	s_addc_u32 s11, s1, 0
	v_lshl_add_u64 v[4:5], s[10:11], 0, v[4:5]
	s_lshl_b64 s[8:9], s[2:3], 17
	v_readfirstlane_b32 s10, v4
	v_readfirstlane_b32 s11, v5
	s_load_dword s10, s[10:11], 0x600
	s_waitcnt lgkmcnt(0)
	s_add_u32 s11, s6, s8
	s_or_b32 s11, s20, s11
	s_and_b32 s12, s4, 7
	s_and_b32 s11, s11, 7
	s_cmp_lg_u32 s11, 0
	s_cselect_b64 s[22:23], -1, 0
	s_lshl_b64 s[2:3], s[2:3], 16
	s_sub_u32 s14, s18, s2
	s_subb_u32 s15, s19, s3
	s_and_b32 s16, s18, 3
	s_or_b64 s[2:3], s[12:13], s[16:17]
	s_cmp_lg_u64 s[2:3], 0
	s_cselect_b64 s[2:3], -1, 0
	s_or_b64 s[2:3], s[22:23], s[2:3]
	s_andn2_b64 vcc, exec, s[2:3]
	s_mov_b64 s[2:3], -1
	s_cbranch_vccz .LBB28_5
; %bb.1:
	v_mov_b64_e32 v[4:5], 0x10000
	v_cmp_lt_i64_e32 vcc, s[14:15], v[4:5]
	s_and_b64 s[2:3], vcc, exec
	s_cselect_b32 s13, s15, 0
	s_cselect_b32 s12, s14, 0x10000
	v_lshlrev_b32_e32 v2, 2, v0
	v_cmp_gt_i64_e32 vcc, s[12:13], v[2:3]
	s_and_saveexec_b64 s[16:17], vcc
	s_cbranch_execz .LBB28_4
; %bb.2:
	s_load_dword s2, s[0:1], 0xd14
	v_sub_f32_e64 v2, 1.0, s10
	v_mov_b32_e32 v1, v3
	s_mov_b32 s19, 0
	v_lshlrev_b32_e32 v4, 3, v0
	s_waitcnt lgkmcnt(0)
	s_and_b32 s18, s2, 0xffff
	v_mov_b32_e32 v5, 0
	v_xor_b32_e32 v6, 0x80000000, v2
	v_cmp_lt_f32_e64 vcc, |s10|, 0.5
	s_mov_b32 s11, s10
	s_mov_b32 s22, s10
	s_mov_b32 s23, s10
	v_mov_b32_e32 v3, v2
	v_lshl_add_u64 v[4:5], s[8:9], 0, v[4:5]
	s_lshl_b32 s24, s18, 3
	s_mov_b32 s25, s19
	s_mov_b64 s[26:27], 0
	v_mov_b32_e32 v7, v6
	v_mov_b64_e32 v[8:9], v[0:1]
.LBB28_3:                               ; =>This Inner Loop Header: Depth=1
	v_lshl_add_u64 v[10:11], s[4:5], 0, v[4:5]
	v_lshl_add_u64 v[12:13], s[6:7], 0, v[4:5]
	global_load_dwordx2 v[14:15], v[10:11], off
	global_load_dwordx2 v[16:17], v[12:13], off
	v_lshl_add_u64 v[8:9], v[8:9], 0, s[18:19]
	v_lshlrev_b64 v[12:13], 2, v[8:9]
	v_cmp_le_i64_e64 s[2:3], s[12:13], v[12:13]
	v_lshl_add_u64 v[10:11], s[20:21], 0, v[4:5]
	v_lshl_add_u64 v[4:5], v[4:5], 0, s[24:25]
	s_or_b64 s[26:27], s[2:3], s[26:27]
	s_waitcnt vmcnt(1)
	v_cvt_f32_f16_sdwa v13, v15 dst_sel:DWORD dst_unused:UNUSED_PAD src0_sel:WORD_1
	v_cvt_f32_f16_e32 v12, v15
	v_cvt_f32_f16_sdwa v15, v14 dst_sel:DWORD dst_unused:UNUSED_PAD src0_sel:WORD_1
	v_cvt_f32_f16_e32 v14, v14
	s_waitcnt vmcnt(0)
	v_cvt_f32_f16_e32 v18, v16
	v_cvt_f32_f16_sdwa v19, v16 dst_sel:DWORD dst_unused:UNUSED_PAD src0_sel:WORD_1
	v_cvt_f32_f16_e32 v16, v17
	v_cvt_f32_f16_sdwa v17, v17 dst_sel:DWORD dst_unused:UNUSED_PAD src0_sel:WORD_1
	v_sub_f32_e32 v20, v18, v14
	v_sub_f32_e32 v21, v19, v15
	;; [unrolled: 1-line block ×4, first 2 shown]
	v_pk_fma_f32 v[12:13], s[22:23], v[22:23], v[12:13]
	v_pk_fma_f32 v[14:15], s[10:11], v[20:21], v[14:15]
	;; [unrolled: 1-line block ×3, first 2 shown]
	v_pk_fma_f32 v[18:19], v[2:3], v[20:21], v[18:19] neg_lo:[1,0,0] neg_hi:[1,0,0]
	v_cndmask_b32_e32 v13, v17, v13, vcc
	v_cndmask_b32_e32 v1, v19, v15, vcc
	;; [unrolled: 1-line block ×4, first 2 shown]
	v_cvt_pk_f16_f32 v13, v12, v13
	v_cvt_pk_f16_f32 v12, v14, v1
	global_store_dwordx2 v[10:11], v[12:13], off
	s_andn2_b64 exec, exec, s[26:27]
	s_cbranch_execnz .LBB28_3
.LBB28_4:
	s_or_b64 exec, exec, s[16:17]
	s_mov_b64 s[2:3], 0
.LBB28_5:
	s_andn2_b64 vcc, exec, s[2:3]
	s_cbranch_vccnz .LBB28_25
; %bb.6:
	v_cmp_lt_i64_e64 s[2:3], s[14:15], 1
	s_and_b64 vcc, exec, s[2:3]
	s_cbranch_vccnz .LBB28_25
; %bb.7:
	s_load_dword s2, s[0:1], 0xd14
	v_mov_b64_e32 v[2:3], 0x10000
	v_cmp_lt_i64_e32 vcc, s[14:15], v[2:3]
	s_and_b64 s[0:1], vcc, exec
	s_cselect_b32 s13, s15, 0
	s_cselect_b32 s12, s14, 0x10000
	s_waitcnt lgkmcnt(0)
	s_and_b32 s2, s2, 0xffff
	v_cmp_lt_u64_e32 vcc, s[14:15], v[2:3]
	s_mov_b32 s3, 0
	v_mov_b32_e32 v1, 0
	s_and_b64 s[0:1], vcc, exec
	s_cselect_b32 s15, s15, 0
	s_cselect_b32 s14, s14, 0x10000
	s_lshl_b32 s16, s2, 2
	s_mov_b32 s17, s3
	v_lshlrev_b32_e32 v16, 1, v0
	v_mov_b32_e32 v17, v1
	v_lshl_add_u64 v[24:25], v[0:1], 0, s[2:3]
	s_lshl_b32 s22, s2, 1
	s_mov_b32 s23, s3
	s_mul_i32 s24, s2, 3
	s_mov_b32 s25, s3
	v_mad_u64_u32 v[12:13], s[26:27], s2, 6, v[16:17]
	v_lshl_add_u64 v[20:21], s[16:17], 0, v[16:17]
	v_lshlrev_b32_e32 v30, 1, v24
	v_mov_b32_e32 v31, v1
	v_cmp_lt_f32_e64 s[0:1], |s10|, 0.5
	v_sub_f32_e64 v32, 1.0, s10
	v_lshl_add_u64 v[2:3], s[4:5], 0, v[16:17]
	s_lshl_b32 s18, s2, 3
	s_mov_b32 s19, s3
	v_lshl_add_u64 v[4:5], s[6:7], 0, v[16:17]
	v_lshl_add_u64 v[6:7], s[20:21], 0, v[16:17]
	;; [unrolled: 1-line block ×13, first 2 shown]
	s_mov_b64 s[20:21], 0
	s_branch .LBB28_9
.LBB28_8:                               ;   in Loop: Header=BB28_9 Depth=1
	s_or_b64 exec, exec, s[2:3]
	s_add_u32 s20, s20, s16
	s_addc_u32 s21, s21, 0
	v_mov_b64_e32 v[34:35], s[12:13]
	v_cmp_ge_i64_e32 vcc, s[20:21], v[34:35]
	v_lshl_add_u64 v[2:3], v[2:3], 0, s[18:19]
	v_lshl_add_u64 v[4:5], v[4:5], 0, s[18:19]
	;; [unrolled: 1-line block ×12, first 2 shown]
	s_cbranch_vccnz .LBB28_25
.LBB28_9:                               ; =>This Inner Loop Header: Depth=1
	v_lshl_add_u64 v[34:35], v[0:1], 0, s[20:21]
	v_cmp_gt_u64_e32 vcc, s[14:15], v[34:35]
	v_mov_b32_e32 v35, 0
	v_mov_b32_e32 v34, 0
	s_and_saveexec_b64 s[2:3], vcc
	s_cbranch_execz .LBB28_11
; %bb.10:                               ;   in Loop: Header=BB28_9 Depth=1
	v_lshl_add_u64 v[36:37], v[2:3], 0, s[8:9]
	v_lshl_add_u64 v[34:35], v[4:5], 0, s[8:9]
	global_load_ushort v33, v[36:37], off
	global_load_ushort v38, v[34:35], off
	s_waitcnt vmcnt(1)
	v_cvt_f32_f16_e32 v34, v33
	s_waitcnt vmcnt(0)
	v_cvt_f32_f16_e32 v35, v38
.LBB28_11:                              ;   in Loop: Header=BB28_9 Depth=1
	s_or_b64 exec, exec, s[2:3]
	v_lshl_add_u64 v[36:37], v[24:25], 0, s[20:21]
	v_cmp_gt_u64_e64 s[2:3], s[14:15], v[36:37]
	v_mov_b32_e32 v33, 0
	v_mov_b32_e32 v37, 0
	;; [unrolled: 1-line block ×3, first 2 shown]
	s_and_saveexec_b64 s[4:5], s[2:3]
	s_cbranch_execz .LBB28_13
; %bb.12:                               ;   in Loop: Header=BB28_9 Depth=1
	v_lshl_add_u64 v[38:39], v[26:27], 0, s[8:9]
	v_lshl_add_u64 v[36:37], v[28:29], 0, s[8:9]
	global_load_ushort v40, v[38:39], off
	global_load_ushort v41, v[36:37], off
	s_waitcnt vmcnt(1)
	v_cvt_f32_f16_e32 v36, v40
	s_waitcnt vmcnt(0)
	v_cvt_f32_f16_e32 v37, v41
.LBB28_13:                              ;   in Loop: Header=BB28_9 Depth=1
	s_or_b64 exec, exec, s[4:5]
	v_lshl_add_u64 v[38:39], v[22:23], 0, s[20:21]
	v_cmp_gt_u64_e64 s[4:5], s[14:15], v[38:39]
	v_mov_b32_e32 v38, 0
	s_and_saveexec_b64 s[6:7], s[4:5]
	s_cbranch_execz .LBB28_15
; %bb.14:                               ;   in Loop: Header=BB28_9 Depth=1
	v_lshl_add_u64 v[40:41], v[16:17], 0, s[8:9]
	v_lshl_add_u64 v[38:39], v[18:19], 0, s[8:9]
	global_load_ushort v33, v[40:41], off
	global_load_ushort v42, v[38:39], off
	s_waitcnt vmcnt(1)
	v_cvt_f32_f16_e32 v38, v33
	s_waitcnt vmcnt(0)
	v_cvt_f32_f16_e32 v33, v42
.LBB28_15:                              ;   in Loop: Header=BB28_9 Depth=1
	s_or_b64 exec, exec, s[6:7]
	v_lshl_add_u64 v[40:41], v[14:15], 0, s[20:21]
	v_cmp_gt_u64_e64 s[6:7], s[14:15], v[40:41]
	v_mov_b32_e32 v39, 0
	v_mov_b32_e32 v40, 0
	s_and_saveexec_b64 s[22:23], s[6:7]
	s_cbranch_execnz .LBB28_20
; %bb.16:                               ;   in Loop: Header=BB28_9 Depth=1
	s_or_b64 exec, exec, s[22:23]
	s_and_saveexec_b64 s[22:23], vcc
	s_cbranch_execnz .LBB28_21
.LBB28_17:                              ;   in Loop: Header=BB28_9 Depth=1
	s_or_b64 exec, exec, s[22:23]
	s_and_saveexec_b64 s[22:23], s[2:3]
	s_cbranch_execnz .LBB28_22
.LBB28_18:                              ;   in Loop: Header=BB28_9 Depth=1
	s_or_b64 exec, exec, s[22:23]
	s_and_saveexec_b64 s[2:3], s[4:5]
	s_cbranch_execnz .LBB28_23
.LBB28_19:                              ;   in Loop: Header=BB28_9 Depth=1
	s_or_b64 exec, exec, s[2:3]
	s_and_saveexec_b64 s[2:3], s[6:7]
	s_cbranch_execz .LBB28_8
	s_branch .LBB28_24
.LBB28_20:                              ;   in Loop: Header=BB28_9 Depth=1
	v_lshl_add_u64 v[42:43], v[8:9], 0, s[8:9]
	v_lshl_add_u64 v[40:41], v[10:11], 0, s[8:9]
	global_load_ushort v39, v[42:43], off
	global_load_ushort v44, v[40:41], off
	s_waitcnt vmcnt(1)
	v_cvt_f32_f16_e32 v40, v39
	s_waitcnt vmcnt(0)
	v_cvt_f32_f16_e32 v39, v44
	s_or_b64 exec, exec, s[22:23]
	s_and_saveexec_b64 s[22:23], vcc
	s_cbranch_execz .LBB28_17
.LBB28_21:                              ;   in Loop: Header=BB28_9 Depth=1
	v_sub_f32_e32 v41, v35, v34
	v_fmac_f32_e32 v34, s10, v41
	v_fma_f32 v35, -v32, v41, v35
	v_cndmask_b32_e64 v34, v35, v34, s[0:1]
	v_cvt_f16_f32_e32 v41, v34
	v_lshl_add_u64 v[34:35], v[6:7], 0, s[8:9]
	global_store_short v[34:35], v41, off
	s_or_b64 exec, exec, s[22:23]
	s_and_saveexec_b64 s[22:23], s[2:3]
	s_cbranch_execz .LBB28_18
.LBB28_22:                              ;   in Loop: Header=BB28_9 Depth=1
	v_sub_f32_e32 v34, v37, v36
	v_fmac_f32_e32 v36, s10, v34
	v_fma_f32 v34, -v32, v34, v37
	v_cndmask_b32_e64 v34, v34, v36, s[0:1]
	v_cvt_f16_f32_e32 v36, v34
	v_lshl_add_u64 v[34:35], v[30:31], 0, s[8:9]
	global_store_short v[34:35], v36, off
	s_or_b64 exec, exec, s[22:23]
	s_and_saveexec_b64 s[2:3], s[4:5]
	s_cbranch_execz .LBB28_19
.LBB28_23:                              ;   in Loop: Header=BB28_9 Depth=1
	v_sub_f32_e32 v34, v33, v38
	v_fmac_f32_e32 v38, s10, v34
	v_fma_f32 v33, -v32, v34, v33
	v_cndmask_b32_e64 v33, v33, v38, s[0:1]
	v_cvt_f16_f32_e32 v33, v33
	v_lshl_add_u64 v[34:35], v[20:21], 0, s[8:9]
	global_store_short v[34:35], v33, off
	s_or_b64 exec, exec, s[2:3]
	s_and_saveexec_b64 s[2:3], s[6:7]
	s_cbranch_execz .LBB28_8
.LBB28_24:                              ;   in Loop: Header=BB28_9 Depth=1
	v_sub_f32_e32 v33, v39, v40
	v_fmac_f32_e32 v40, s10, v33
	v_fma_f32 v33, -v32, v33, v39
	v_cndmask_b32_e64 v33, v33, v40, s[0:1]
	v_cvt_f16_f32_e32 v33, v33
	v_lshl_add_u64 v[34:35], v[12:13], 0, s[8:9]
	global_store_short v[34:35], v33, off
	s_branch .LBB28_8
.LBB28_25:
	s_endpgm
	.section	.rodata,"a",@progbits
	.p2align	6, 0x0
	.amdhsa_kernel _ZN2at6native12_GLOBAL__N_125multi_tensor_apply_kernelINS1_28TensorListScalarListMetadataIfLi3EEENS1_26TernaryOpScalarListFunctorIN3c104HalfELi3ELi2ELi2EEEJNS0_11LerpFunctorIfEEEEEvT_T0_DpT1_
		.amdhsa_group_segment_fixed_size 0
		.amdhsa_private_segment_fixed_size 0
		.amdhsa_kernarg_size 3592
		.amdhsa_user_sgpr_count 2
		.amdhsa_user_sgpr_dispatch_ptr 0
		.amdhsa_user_sgpr_queue_ptr 0
		.amdhsa_user_sgpr_kernarg_segment_ptr 1
		.amdhsa_user_sgpr_dispatch_id 0
		.amdhsa_user_sgpr_kernarg_preload_length 0
		.amdhsa_user_sgpr_kernarg_preload_offset 0
		.amdhsa_user_sgpr_private_segment_size 0
		.amdhsa_uses_dynamic_stack 0
		.amdhsa_enable_private_segment 0
		.amdhsa_system_sgpr_workgroup_id_x 1
		.amdhsa_system_sgpr_workgroup_id_y 0
		.amdhsa_system_sgpr_workgroup_id_z 0
		.amdhsa_system_sgpr_workgroup_info 0
		.amdhsa_system_vgpr_workitem_id 0
		.amdhsa_next_free_vgpr 45
		.amdhsa_next_free_sgpr 28
		.amdhsa_accum_offset 48
		.amdhsa_reserve_vcc 1
		.amdhsa_float_round_mode_32 0
		.amdhsa_float_round_mode_16_64 0
		.amdhsa_float_denorm_mode_32 3
		.amdhsa_float_denorm_mode_16_64 3
		.amdhsa_dx10_clamp 1
		.amdhsa_ieee_mode 1
		.amdhsa_fp16_overflow 0
		.amdhsa_tg_split 0
		.amdhsa_exception_fp_ieee_invalid_op 0
		.amdhsa_exception_fp_denorm_src 0
		.amdhsa_exception_fp_ieee_div_zero 0
		.amdhsa_exception_fp_ieee_overflow 0
		.amdhsa_exception_fp_ieee_underflow 0
		.amdhsa_exception_fp_ieee_inexact 0
		.amdhsa_exception_int_div_zero 0
	.end_amdhsa_kernel
	.section	.text._ZN2at6native12_GLOBAL__N_125multi_tensor_apply_kernelINS1_28TensorListScalarListMetadataIfLi3EEENS1_26TernaryOpScalarListFunctorIN3c104HalfELi3ELi2ELi2EEEJNS0_11LerpFunctorIfEEEEEvT_T0_DpT1_,"axG",@progbits,_ZN2at6native12_GLOBAL__N_125multi_tensor_apply_kernelINS1_28TensorListScalarListMetadataIfLi3EEENS1_26TernaryOpScalarListFunctorIN3c104HalfELi3ELi2ELi2EEEJNS0_11LerpFunctorIfEEEEEvT_T0_DpT1_,comdat
.Lfunc_end28:
	.size	_ZN2at6native12_GLOBAL__N_125multi_tensor_apply_kernelINS1_28TensorListScalarListMetadataIfLi3EEENS1_26TernaryOpScalarListFunctorIN3c104HalfELi3ELi2ELi2EEEJNS0_11LerpFunctorIfEEEEEvT_T0_DpT1_, .Lfunc_end28-_ZN2at6native12_GLOBAL__N_125multi_tensor_apply_kernelINS1_28TensorListScalarListMetadataIfLi3EEENS1_26TernaryOpScalarListFunctorIN3c104HalfELi3ELi2ELi2EEEJNS0_11LerpFunctorIfEEEEEvT_T0_DpT1_
                                        ; -- End function
	.set _ZN2at6native12_GLOBAL__N_125multi_tensor_apply_kernelINS1_28TensorListScalarListMetadataIfLi3EEENS1_26TernaryOpScalarListFunctorIN3c104HalfELi3ELi2ELi2EEEJNS0_11LerpFunctorIfEEEEEvT_T0_DpT1_.num_vgpr, 45
	.set _ZN2at6native12_GLOBAL__N_125multi_tensor_apply_kernelINS1_28TensorListScalarListMetadataIfLi3EEENS1_26TernaryOpScalarListFunctorIN3c104HalfELi3ELi2ELi2EEEJNS0_11LerpFunctorIfEEEEEvT_T0_DpT1_.num_agpr, 0
	.set _ZN2at6native12_GLOBAL__N_125multi_tensor_apply_kernelINS1_28TensorListScalarListMetadataIfLi3EEENS1_26TernaryOpScalarListFunctorIN3c104HalfELi3ELi2ELi2EEEJNS0_11LerpFunctorIfEEEEEvT_T0_DpT1_.numbered_sgpr, 28
	.set _ZN2at6native12_GLOBAL__N_125multi_tensor_apply_kernelINS1_28TensorListScalarListMetadataIfLi3EEENS1_26TernaryOpScalarListFunctorIN3c104HalfELi3ELi2ELi2EEEJNS0_11LerpFunctorIfEEEEEvT_T0_DpT1_.num_named_barrier, 0
	.set _ZN2at6native12_GLOBAL__N_125multi_tensor_apply_kernelINS1_28TensorListScalarListMetadataIfLi3EEENS1_26TernaryOpScalarListFunctorIN3c104HalfELi3ELi2ELi2EEEJNS0_11LerpFunctorIfEEEEEvT_T0_DpT1_.private_seg_size, 0
	.set _ZN2at6native12_GLOBAL__N_125multi_tensor_apply_kernelINS1_28TensorListScalarListMetadataIfLi3EEENS1_26TernaryOpScalarListFunctorIN3c104HalfELi3ELi2ELi2EEEJNS0_11LerpFunctorIfEEEEEvT_T0_DpT1_.uses_vcc, 1
	.set _ZN2at6native12_GLOBAL__N_125multi_tensor_apply_kernelINS1_28TensorListScalarListMetadataIfLi3EEENS1_26TernaryOpScalarListFunctorIN3c104HalfELi3ELi2ELi2EEEJNS0_11LerpFunctorIfEEEEEvT_T0_DpT1_.uses_flat_scratch, 0
	.set _ZN2at6native12_GLOBAL__N_125multi_tensor_apply_kernelINS1_28TensorListScalarListMetadataIfLi3EEENS1_26TernaryOpScalarListFunctorIN3c104HalfELi3ELi2ELi2EEEJNS0_11LerpFunctorIfEEEEEvT_T0_DpT1_.has_dyn_sized_stack, 0
	.set _ZN2at6native12_GLOBAL__N_125multi_tensor_apply_kernelINS1_28TensorListScalarListMetadataIfLi3EEENS1_26TernaryOpScalarListFunctorIN3c104HalfELi3ELi2ELi2EEEJNS0_11LerpFunctorIfEEEEEvT_T0_DpT1_.has_recursion, 0
	.set _ZN2at6native12_GLOBAL__N_125multi_tensor_apply_kernelINS1_28TensorListScalarListMetadataIfLi3EEENS1_26TernaryOpScalarListFunctorIN3c104HalfELi3ELi2ELi2EEEJNS0_11LerpFunctorIfEEEEEvT_T0_DpT1_.has_indirect_call, 0
	.section	.AMDGPU.csdata,"",@progbits
; Kernel info:
; codeLenInByte = 1660
; TotalNumSgprs: 34
; NumVgprs: 45
; NumAgprs: 0
; TotalNumVgprs: 45
; ScratchSize: 0
; MemoryBound: 0
; FloatMode: 240
; IeeeMode: 1
; LDSByteSize: 0 bytes/workgroup (compile time only)
; SGPRBlocks: 4
; VGPRBlocks: 5
; NumSGPRsForWavesPerEU: 34
; NumVGPRsForWavesPerEU: 45
; AccumOffset: 48
; Occupancy: 8
; WaveLimiterHint : 0
; COMPUTE_PGM_RSRC2:SCRATCH_EN: 0
; COMPUTE_PGM_RSRC2:USER_SGPR: 2
; COMPUTE_PGM_RSRC2:TRAP_HANDLER: 0
; COMPUTE_PGM_RSRC2:TGID_X_EN: 1
; COMPUTE_PGM_RSRC2:TGID_Y_EN: 0
; COMPUTE_PGM_RSRC2:TGID_Z_EN: 0
; COMPUTE_PGM_RSRC2:TIDIG_COMP_CNT: 0
; COMPUTE_PGM_RSRC3_GFX90A:ACCUM_OFFSET: 11
; COMPUTE_PGM_RSRC3_GFX90A:TG_SPLIT: 0
	.section	.text._ZN2at6native12_GLOBAL__N_125multi_tensor_apply_kernelINS1_28TensorListScalarListMetadataIfLi3EEENS1_26TernaryOpScalarListFunctorIN3c108BFloat16ELi3ELi2ELi2EEEJNS0_11LerpFunctorIfEEEEEvT_T0_DpT1_,"axG",@progbits,_ZN2at6native12_GLOBAL__N_125multi_tensor_apply_kernelINS1_28TensorListScalarListMetadataIfLi3EEENS1_26TernaryOpScalarListFunctorIN3c108BFloat16ELi3ELi2ELi2EEEJNS0_11LerpFunctorIfEEEEEvT_T0_DpT1_,comdat
	.globl	_ZN2at6native12_GLOBAL__N_125multi_tensor_apply_kernelINS1_28TensorListScalarListMetadataIfLi3EEENS1_26TernaryOpScalarListFunctorIN3c108BFloat16ELi3ELi2ELi2EEEJNS0_11LerpFunctorIfEEEEEvT_T0_DpT1_ ; -- Begin function _ZN2at6native12_GLOBAL__N_125multi_tensor_apply_kernelINS1_28TensorListScalarListMetadataIfLi3EEENS1_26TernaryOpScalarListFunctorIN3c108BFloat16ELi3ELi2ELi2EEEJNS0_11LerpFunctorIfEEEEEvT_T0_DpT1_
	.p2align	8
	.type	_ZN2at6native12_GLOBAL__N_125multi_tensor_apply_kernelINS1_28TensorListScalarListMetadataIfLi3EEENS1_26TernaryOpScalarListFunctorIN3c108BFloat16ELi3ELi2ELi2EEEJNS0_11LerpFunctorIfEEEEEvT_T0_DpT1_,@function
_ZN2at6native12_GLOBAL__N_125multi_tensor_apply_kernelINS1_28TensorListScalarListMetadataIfLi3EEENS1_26TernaryOpScalarListFunctorIN3c108BFloat16ELi3ELi2ELi2EEEJNS0_11LerpFunctorIfEEEEEvT_T0_DpT1_: ; @_ZN2at6native12_GLOBAL__N_125multi_tensor_apply_kernelINS1_28TensorListScalarListMetadataIfLi3EEENS1_26TernaryOpScalarListFunctorIN3c108BFloat16ELi3ELi2ELi2EEEJNS0_11LerpFunctorIfEEEEEvT_T0_DpT1_
; %bb.0:
	v_mov_b32_e32 v1, s2
	global_load_ubyte v1, v1, s[0:1] offset:1728
	s_add_u32 s3, s0, s2
	s_mul_i32 s4, s2, 3
	s_addc_u32 s5, s1, 0
	s_mul_hi_u32 s6, s2, 3
	s_add_u32 s2, s3, s4
	s_addc_u32 s3, s5, s6
	s_load_dword s2, s[2:3], 0x800
	s_mov_b32 s5, 0
	s_mov_b32 s7, s5
	v_mov_b32_e32 v3, 0
	s_waitcnt lgkmcnt(0)
	s_ashr_i32 s3, s2, 31
	s_waitcnt vmcnt(0)
	v_readfirstlane_b32 s4, v1
	s_lshl_b32 s4, s4, 3
	v_lshlrev_b32_e32 v1, 2, v1
	s_load_dwordx2 s[12:13], s[0:1], s4 offset:0x480
	s_load_dwordx2 s[18:19], s[0:1], s4 offset:0x0
	;; [unrolled: 1-line block ×4, first 2 shown]
	v_sub_co_u32_e32 v4, vcc, 0, v1
	s_add_u32 s10, s0, s4
	s_nop 0
	v_subb_co_u32_e64 v5, s[8:9], 0, 0, vcc
	s_addc_u32 s11, s1, 0
	s_lshl_b64 s[8:9], s[2:3], 17
	s_waitcnt lgkmcnt(0)
	s_add_u32 s6, s20, s8
	s_or_b32 s6, s22, s6
	v_lshl_add_u64 v[4:5], s[10:11], 0, v[4:5]
	s_and_b32 s4, s18, 7
	s_and_b32 s6, s6, 7
	v_readfirstlane_b32 s10, v4
	v_readfirstlane_b32 s11, v5
	s_cmp_lg_u32 s6, 0
	s_load_dword s28, s[10:11], 0x600
	s_cselect_b64 s[10:11], -1, 0
	s_lshl_b64 s[2:3], s[2:3], 16
	s_sub_u32 s14, s12, s2
	s_subb_u32 s15, s13, s3
	s_and_b32 s6, s12, 3
	s_or_b64 s[2:3], s[4:5], s[6:7]
	s_cmp_lg_u64 s[2:3], 0
	s_cselect_b64 s[2:3], -1, 0
	s_or_b64 s[2:3], s[10:11], s[2:3]
	s_andn2_b64 vcc, exec, s[2:3]
	s_mov_b64 s[2:3], -1
	s_cbranch_vccz .LBB29_5
; %bb.1:
	v_mov_b64_e32 v[4:5], 0x10000
	v_cmp_lt_i64_e32 vcc, s[14:15], v[4:5]
	s_and_b64 s[2:3], vcc, exec
	s_cselect_b32 s11, s15, 0
	s_cselect_b32 s10, s14, 0x10000
	v_lshlrev_b32_e32 v2, 2, v0
	v_cmp_gt_i64_e32 vcc, s[10:11], v[2:3]
	s_and_saveexec_b64 s[12:13], vcc
	s_cbranch_execz .LBB29_4
; %bb.2:
	s_load_dword s2, s[0:1], 0xd14
	v_mov_b32_e32 v1, v3
	s_mov_b32 s17, 0
	v_lshlrev_b32_e32 v2, 3, v0
	v_mov_b32_e32 v3, 0
	s_waitcnt lgkmcnt(0)
	s_and_b32 s16, s2, 0xffff
	v_cmp_lt_f32_e64 vcc, |s28|, 0.5
	v_sub_f32_e64 v6, 1.0, s28
	v_lshl_add_u64 v[2:3], s[8:9], 0, v[2:3]
	s_lshl_b32 s24, s16, 3
	s_mov_b32 s25, s17
	s_mov_b64 s[26:27], 0
	s_movk_i32 s29, 0x7fff
	v_mov_b32_e32 v7, 0x7fc0
	v_mov_b32_e32 v8, 0x7fc00000
	v_mov_b64_e32 v[4:5], v[0:1]
.LBB29_3:                               ; =>This Inner Loop Header: Depth=1
	v_lshl_add_u64 v[10:11], s[18:19], 0, v[2:3]
	v_lshl_add_u64 v[12:13], s[20:21], 0, v[2:3]
	global_load_dwordx2 v[14:15], v[10:11], off
	global_load_dwordx2 v[16:17], v[12:13], off
	v_lshl_add_u64 v[4:5], v[4:5], 0, s[16:17]
	v_lshlrev_b64 v[12:13], 2, v[4:5]
	v_cmp_le_i64_e64 s[2:3], s[10:11], v[12:13]
	s_or_b64 s[26:27], s[2:3], s[26:27]
	v_lshl_add_u64 v[10:11], s[22:23], 0, v[2:3]
	v_lshl_add_u64 v[2:3], v[2:3], 0, s[24:25]
	s_waitcnt vmcnt(1)
	v_lshlrev_b32_e32 v1, 16, v14
	s_waitcnt vmcnt(0)
	v_lshlrev_b32_e32 v9, 16, v16
	v_and_b32_e32 v12, 0xffff0000, v14
	v_and_b32_e32 v13, 0xffff0000, v16
	v_alignbit_b32 v14, v15, v14, 16
	v_alignbit_b32 v16, v17, v16, 16
	v_and_b32_e32 v15, 0xffff0000, v15
	v_and_b32_e32 v17, 0xffff0000, v17
	v_sub_f32_e32 v18, v9, v1
	v_sub_f32_e32 v19, v13, v12
	v_and_b32_e32 v14, 0xffff0000, v14
	v_and_b32_e32 v16, 0xffff0000, v16
	v_sub_f32_e32 v20, v17, v15
	v_fmac_f32_e32 v1, s28, v18
	v_fma_f32 v9, -v6, v18, v9
	v_fmac_f32_e32 v12, s28, v19
	v_fma_f32 v13, -v6, v19, v13
	v_sub_f32_e32 v18, v16, v14
	v_fmac_f32_e32 v15, s28, v20
	v_fma_f32 v17, -v6, v20, v17
	v_cndmask_b32_e32 v1, v9, v1, vcc
	v_cndmask_b32_e32 v9, v13, v12, vcc
	v_fmac_f32_e32 v14, s28, v18
	v_fma_f32 v12, -v6, v18, v16
	v_cndmask_b32_e32 v13, v17, v15, vcc
	v_bfe_u32 v15, v1, 16, 1
	v_bfe_u32 v16, v9, 16, 1
	v_cndmask_b32_e32 v12, v12, v14, vcc
	v_bfe_u32 v14, v13, 16, 1
	v_add3_u32 v15, v1, v15, s29
	v_add3_u32 v16, v9, v16, s29
	v_bfe_u32 v17, v12, 16, 1
	v_add3_u32 v14, v13, v14, s29
	v_lshrrev_b32_e32 v15, 16, v15
	v_and_b32_e32 v16, 0xffff0000, v16
	v_cmp_o_f32_e64 s[2:3], v9, v9
	v_add3_u32 v9, v12, v17, s29
	v_cmp_o_f32_e64 s[6:7], v1, v1
	v_and_b32_e32 v14, 0xffff0000, v14
	v_cmp_o_f32_e64 s[4:5], v13, v13
	v_cndmask_b32_e64 v1, v7, v15, s[6:7]
	v_cndmask_b32_e64 v13, v8, v16, s[2:3]
	v_lshrrev_b32_e32 v9, 16, v9
	v_cmp_o_f32_e64 s[2:3], v12, v12
	v_cndmask_b32_e64 v12, v8, v14, s[4:5]
	v_or_b32_e32 v1, v1, v13
	v_cndmask_b32_e64 v9, v7, v9, s[2:3]
	v_or3_b32 v13, 0, v9, v12
	v_or3_b32 v12, v1, 0, 0
	global_store_dwordx2 v[10:11], v[12:13], off
	s_andn2_b64 exec, exec, s[26:27]
	s_cbranch_execnz .LBB29_3
.LBB29_4:
	s_or_b64 exec, exec, s[12:13]
	s_mov_b64 s[2:3], 0
.LBB29_5:
	s_andn2_b64 vcc, exec, s[2:3]
	s_cbranch_vccnz .LBB29_25
; %bb.6:
	v_cmp_lt_i64_e64 s[2:3], s[14:15], 1
	s_and_b64 vcc, exec, s[2:3]
	s_cbranch_vccnz .LBB29_25
; %bb.7:
	s_load_dword s0, s[0:1], 0xd14
	v_mov_b64_e32 v[4:5], 0x10000
	v_cmp_lt_i64_e32 vcc, s[14:15], v[4:5]
	s_and_b64 s[2:3], vcc, exec
	s_mov_b32 s11, 0
	s_cselect_b32 s13, s15, 0
	s_cselect_b32 s12, s14, 0x10000
	v_mov_b32_e32 v2, 0
	s_waitcnt lgkmcnt(0)
	s_and_b32 s2, s0, 0xffff
	v_cmp_lt_u64_e32 vcc, s[14:15], v[4:5]
	v_mov_b32_e32 v1, v2
	s_and_b64 s[0:1], vcc, exec
	s_mov_b32 s3, s11
	s_cselect_b32 s15, s15, 0
	s_cselect_b32 s14, s14, 0x10000
	s_lshl_b32 s10, s2, 2
	v_lshlrev_b32_e32 v18, 1, v0
	v_mov_b32_e32 v19, v2
	v_lshl_add_u64 v[26:27], v[0:1], 0, s[2:3]
	s_lshl_b32 s4, s2, 1
	s_mov_b32 s5, s11
	s_mul_i32 s6, s2, 3
	s_mov_b32 s7, s11
	v_mad_u64_u32 v[14:15], s[24:25], s2, 6, v[18:19]
	v_lshl_add_u64 v[22:23], s[10:11], 0, v[18:19]
	v_lshlrev_b32_e32 v32, 1, v26
	v_mov_b32_e32 v33, v2
	v_cmp_lt_f32_e64 s[0:1], |s28|, 0.5
	v_sub_f32_e64 v38, 1.0, s28
	v_lshl_add_u64 v[4:5], s[18:19], 0, v[18:19]
	s_lshl_b32 s16, s2, 3
	s_mov_b32 s17, s11
	v_lshl_add_u64 v[6:7], s[20:21], 0, v[18:19]
	v_lshl_add_u64 v[8:9], s[22:23], 0, v[18:19]
	;; [unrolled: 1-line block ×13, first 2 shown]
	s_mov_b64 s[18:19], 0
	s_movk_i32 s22, 0x7fff
	v_mov_b32_e32 v39, 0x7fc0
	s_branch .LBB29_9
.LBB29_8:                               ;   in Loop: Header=BB29_9 Depth=1
	s_or_b64 exec, exec, s[2:3]
	s_add_u32 s18, s18, s10
	s_addc_u32 s19, s19, 0
	v_mov_b64_e32 v[34:35], s[12:13]
	v_cmp_ge_i64_e32 vcc, s[18:19], v[34:35]
	v_lshl_add_u64 v[4:5], v[4:5], 0, s[16:17]
	v_lshl_add_u64 v[6:7], v[6:7], 0, s[16:17]
	;; [unrolled: 1-line block ×12, first 2 shown]
	s_cbranch_vccnz .LBB29_25
.LBB29_9:                               ; =>This Inner Loop Header: Depth=1
	v_lshl_add_u64 v[34:35], v[0:1], 0, s[18:19]
	v_cmp_gt_u64_e32 vcc, s[14:15], v[34:35]
	v_mov_b64_e32 v[34:35], 0
	v_mov_b64_e32 v[36:37], 0
	s_and_saveexec_b64 s[2:3], vcc
	s_cbranch_execz .LBB29_11
; %bb.10:                               ;   in Loop: Header=BB29_9 Depth=1
	v_lshl_add_u64 v[36:37], v[4:5], 0, s[8:9]
	v_lshl_add_u64 v[34:35], v[6:7], 0, s[8:9]
	global_load_ushort v3, v[36:37], off
	global_load_ushort v40, v[34:35], off
	v_mov_b32_e32 v37, s11
	v_mov_b32_e32 v35, s11
	s_waitcnt vmcnt(1)
	v_and_b32_e32 v36, 0xffff, v3
	s_waitcnt vmcnt(0)
	v_and_b32_e32 v34, 0xffff, v40
.LBB29_11:                              ;   in Loop: Header=BB29_9 Depth=1
	s_or_b64 exec, exec, s[2:3]
	v_lshl_add_u64 v[40:41], v[26:27], 0, s[18:19]
	v_cmp_gt_u64_e64 s[2:3], s[14:15], v[40:41]
	s_and_saveexec_b64 s[4:5], s[2:3]
	s_cbranch_execz .LBB29_13
; %bb.12:                               ;   in Loop: Header=BB29_9 Depth=1
	v_lshl_add_u64 v[40:41], v[28:29], 0, s[8:9]
	global_load_ushort v3, v[40:41], off
	v_lshl_add_u64 v[40:41], v[30:31], 0, s[8:9]
	global_load_ushort v40, v[40:41], off
	s_waitcnt vmcnt(1)
	v_lshl_or_b32 v36, v3, 16, v36
	s_waitcnt vmcnt(0)
	v_lshl_or_b32 v34, v40, 16, v34
.LBB29_13:                              ;   in Loop: Header=BB29_9 Depth=1
	s_or_b64 exec, exec, s[4:5]
	v_lshl_add_u64 v[40:41], v[24:25], 0, s[18:19]
	v_cmp_gt_u64_e64 s[4:5], s[14:15], v[40:41]
	v_cmp_le_u64_e64 s[6:7], s[14:15], v[40:41]
	s_and_saveexec_b64 s[20:21], s[6:7]
	s_xor_b64 s[6:7], exec, s[20:21]
	s_andn2_saveexec_b64 s[6:7], s[6:7]
	s_cbranch_execz .LBB29_15
; %bb.14:                               ;   in Loop: Header=BB29_9 Depth=1
	v_lshl_add_u64 v[40:41], v[18:19], 0, s[8:9]
	global_load_ushort v3, v[40:41], off
	v_lshl_add_u64 v[40:41], v[20:21], 0, s[8:9]
	global_load_ushort v40, v[40:41], off
	s_waitcnt vmcnt(1)
	v_or_b32_e32 v37, v3, v37
	s_waitcnt vmcnt(0)
	v_or_b32_e32 v35, v40, v35
.LBB29_15:                              ;   in Loop: Header=BB29_9 Depth=1
	s_or_b64 exec, exec, s[6:7]
	v_lshl_add_u64 v[40:41], v[16:17], 0, s[18:19]
	v_cmp_gt_u64_e64 s[6:7], s[14:15], v[40:41]
	s_and_saveexec_b64 s[20:21], s[6:7]
	s_cbranch_execnz .LBB29_20
; %bb.16:                               ;   in Loop: Header=BB29_9 Depth=1
	s_or_b64 exec, exec, s[20:21]
	s_and_saveexec_b64 s[20:21], vcc
	s_cbranch_execnz .LBB29_21
.LBB29_17:                              ;   in Loop: Header=BB29_9 Depth=1
	s_or_b64 exec, exec, s[20:21]
	s_and_saveexec_b64 s[20:21], s[2:3]
	s_cbranch_execnz .LBB29_22
.LBB29_18:                              ;   in Loop: Header=BB29_9 Depth=1
	s_or_b64 exec, exec, s[20:21]
	s_and_saveexec_b64 s[2:3], s[4:5]
	s_cbranch_execnz .LBB29_23
.LBB29_19:                              ;   in Loop: Header=BB29_9 Depth=1
	s_or_b64 exec, exec, s[2:3]
	s_and_saveexec_b64 s[2:3], s[6:7]
	s_cbranch_execz .LBB29_8
	s_branch .LBB29_24
.LBB29_20:                              ;   in Loop: Header=BB29_9 Depth=1
	v_lshl_add_u64 v[40:41], v[10:11], 0, s[8:9]
	global_load_ushort v3, v[40:41], off
	v_lshl_add_u64 v[40:41], v[12:13], 0, s[8:9]
	global_load_ushort v40, v[40:41], off
	s_waitcnt vmcnt(1)
	v_lshlrev_b32_e32 v41, 16, v3
	v_or_b32_e32 v37, v41, v37
	s_waitcnt vmcnt(0)
	v_lshlrev_b32_e32 v3, 16, v40
	v_lshl_add_u64 v[34:35], v[2:3], 0, v[34:35]
	s_or_b64 exec, exec, s[20:21]
	s_and_saveexec_b64 s[20:21], vcc
	s_cbranch_execz .LBB29_17
.LBB29_21:                              ;   in Loop: Header=BB29_9 Depth=1
	v_lshlrev_b32_e32 v3, 16, v34
	v_lshlrev_b32_e32 v40, 16, v36
	v_sub_f32_e32 v41, v3, v40
	v_fmac_f32_e32 v40, s28, v41
	v_fma_f32 v3, -v38, v41, v3
	v_cndmask_b32_e64 v3, v3, v40, s[0:1]
	v_bfe_u32 v40, v3, 16, 1
	v_add3_u32 v42, v3, v40, s22
	v_cmp_o_f32_e32 vcc, v3, v3
	v_lshl_add_u64 v[40:41], v[8:9], 0, s[8:9]
	s_nop 0
	v_cndmask_b32_sdwa v3, v39, v42, vcc dst_sel:DWORD dst_unused:UNUSED_PAD src0_sel:DWORD src1_sel:WORD_1
	global_store_short v[40:41], v3, off
	s_or_b64 exec, exec, s[20:21]
	s_and_saveexec_b64 s[20:21], s[2:3]
	s_cbranch_execz .LBB29_18
.LBB29_22:                              ;   in Loop: Header=BB29_9 Depth=1
	v_and_b32_e32 v3, 0xffff0000, v36
	v_and_b32_e32 v40, 0xffff0000, v34
	v_sub_f32_e32 v41, v40, v3
	v_fmac_f32_e32 v3, s28, v41
	v_fma_f32 v40, -v38, v41, v40
	v_cndmask_b32_e64 v3, v40, v3, s[0:1]
	v_bfe_u32 v40, v3, 16, 1
	v_add3_u32 v40, v3, v40, s22
	v_cmp_o_f32_e32 vcc, v3, v3
	s_nop 1
	v_cndmask_b32_sdwa v3, v39, v40, vcc dst_sel:DWORD dst_unused:UNUSED_PAD src0_sel:DWORD src1_sel:WORD_1
	v_lshl_add_u64 v[40:41], v[32:33], 0, s[8:9]
	global_store_short v[40:41], v3, off
	s_or_b64 exec, exec, s[20:21]
	s_and_saveexec_b64 s[2:3], s[4:5]
	s_cbranch_execz .LBB29_19
.LBB29_23:                              ;   in Loop: Header=BB29_9 Depth=1
	v_alignbit_b32 v3, v37, v36, 16
	v_alignbit_b32 v34, v35, v34, 16
	v_and_b32_e32 v3, 0xffff0000, v3
	v_and_b32_e32 v34, 0xffff0000, v34
	v_sub_f32_e32 v36, v34, v3
	v_fmac_f32_e32 v3, s28, v36
	v_fma_f32 v34, -v38, v36, v34
	v_cndmask_b32_e64 v3, v34, v3, s[0:1]
	v_bfe_u32 v34, v3, 16, 1
	v_add3_u32 v34, v3, v34, s22
	v_cmp_o_f32_e32 vcc, v3, v3
	v_lshl_add_u64 v[40:41], v[22:23], 0, s[8:9]
	s_nop 0
	v_cndmask_b32_sdwa v3, v39, v34, vcc dst_sel:DWORD dst_unused:UNUSED_PAD src0_sel:DWORD src1_sel:WORD_1
	global_store_short v[40:41], v3, off
	s_or_b64 exec, exec, s[2:3]
	s_and_saveexec_b64 s[2:3], s[6:7]
	s_cbranch_execz .LBB29_8
.LBB29_24:                              ;   in Loop: Header=BB29_9 Depth=1
	v_and_b32_e32 v3, 0xffff0000, v37
	v_and_b32_e32 v34, 0xffff0000, v35
	v_sub_f32_e32 v35, v34, v3
	v_fmac_f32_e32 v3, s28, v35
	v_fma_f32 v34, -v38, v35, v34
	v_cndmask_b32_e64 v3, v34, v3, s[0:1]
	v_bfe_u32 v34, v3, 16, 1
	v_add3_u32 v34, v3, v34, s22
	v_cmp_o_f32_e32 vcc, v3, v3
	s_nop 1
	v_cndmask_b32_sdwa v3, v39, v34, vcc dst_sel:DWORD dst_unused:UNUSED_PAD src0_sel:DWORD src1_sel:WORD_1
	v_lshl_add_u64 v[34:35], v[14:15], 0, s[8:9]
	global_store_short v[34:35], v3, off
	s_branch .LBB29_8
.LBB29_25:
	s_endpgm
	.section	.rodata,"a",@progbits
	.p2align	6, 0x0
	.amdhsa_kernel _ZN2at6native12_GLOBAL__N_125multi_tensor_apply_kernelINS1_28TensorListScalarListMetadataIfLi3EEENS1_26TernaryOpScalarListFunctorIN3c108BFloat16ELi3ELi2ELi2EEEJNS0_11LerpFunctorIfEEEEEvT_T0_DpT1_
		.amdhsa_group_segment_fixed_size 0
		.amdhsa_private_segment_fixed_size 0
		.amdhsa_kernarg_size 3592
		.amdhsa_user_sgpr_count 2
		.amdhsa_user_sgpr_dispatch_ptr 0
		.amdhsa_user_sgpr_queue_ptr 0
		.amdhsa_user_sgpr_kernarg_segment_ptr 1
		.amdhsa_user_sgpr_dispatch_id 0
		.amdhsa_user_sgpr_kernarg_preload_length 0
		.amdhsa_user_sgpr_kernarg_preload_offset 0
		.amdhsa_user_sgpr_private_segment_size 0
		.amdhsa_uses_dynamic_stack 0
		.amdhsa_enable_private_segment 0
		.amdhsa_system_sgpr_workgroup_id_x 1
		.amdhsa_system_sgpr_workgroup_id_y 0
		.amdhsa_system_sgpr_workgroup_id_z 0
		.amdhsa_system_sgpr_workgroup_info 0
		.amdhsa_system_vgpr_workitem_id 0
		.amdhsa_next_free_vgpr 43
		.amdhsa_next_free_sgpr 30
		.amdhsa_accum_offset 44
		.amdhsa_reserve_vcc 1
		.amdhsa_float_round_mode_32 0
		.amdhsa_float_round_mode_16_64 0
		.amdhsa_float_denorm_mode_32 3
		.amdhsa_float_denorm_mode_16_64 3
		.amdhsa_dx10_clamp 1
		.amdhsa_ieee_mode 1
		.amdhsa_fp16_overflow 0
		.amdhsa_tg_split 0
		.amdhsa_exception_fp_ieee_invalid_op 0
		.amdhsa_exception_fp_denorm_src 0
		.amdhsa_exception_fp_ieee_div_zero 0
		.amdhsa_exception_fp_ieee_overflow 0
		.amdhsa_exception_fp_ieee_underflow 0
		.amdhsa_exception_fp_ieee_inexact 0
		.amdhsa_exception_int_div_zero 0
	.end_amdhsa_kernel
	.section	.text._ZN2at6native12_GLOBAL__N_125multi_tensor_apply_kernelINS1_28TensorListScalarListMetadataIfLi3EEENS1_26TernaryOpScalarListFunctorIN3c108BFloat16ELi3ELi2ELi2EEEJNS0_11LerpFunctorIfEEEEEvT_T0_DpT1_,"axG",@progbits,_ZN2at6native12_GLOBAL__N_125multi_tensor_apply_kernelINS1_28TensorListScalarListMetadataIfLi3EEENS1_26TernaryOpScalarListFunctorIN3c108BFloat16ELi3ELi2ELi2EEEJNS0_11LerpFunctorIfEEEEEvT_T0_DpT1_,comdat
.Lfunc_end29:
	.size	_ZN2at6native12_GLOBAL__N_125multi_tensor_apply_kernelINS1_28TensorListScalarListMetadataIfLi3EEENS1_26TernaryOpScalarListFunctorIN3c108BFloat16ELi3ELi2ELi2EEEJNS0_11LerpFunctorIfEEEEEvT_T0_DpT1_, .Lfunc_end29-_ZN2at6native12_GLOBAL__N_125multi_tensor_apply_kernelINS1_28TensorListScalarListMetadataIfLi3EEENS1_26TernaryOpScalarListFunctorIN3c108BFloat16ELi3ELi2ELi2EEEJNS0_11LerpFunctorIfEEEEEvT_T0_DpT1_
                                        ; -- End function
	.set _ZN2at6native12_GLOBAL__N_125multi_tensor_apply_kernelINS1_28TensorListScalarListMetadataIfLi3EEENS1_26TernaryOpScalarListFunctorIN3c108BFloat16ELi3ELi2ELi2EEEJNS0_11LerpFunctorIfEEEEEvT_T0_DpT1_.num_vgpr, 43
	.set _ZN2at6native12_GLOBAL__N_125multi_tensor_apply_kernelINS1_28TensorListScalarListMetadataIfLi3EEENS1_26TernaryOpScalarListFunctorIN3c108BFloat16ELi3ELi2ELi2EEEJNS0_11LerpFunctorIfEEEEEvT_T0_DpT1_.num_agpr, 0
	.set _ZN2at6native12_GLOBAL__N_125multi_tensor_apply_kernelINS1_28TensorListScalarListMetadataIfLi3EEENS1_26TernaryOpScalarListFunctorIN3c108BFloat16ELi3ELi2ELi2EEEJNS0_11LerpFunctorIfEEEEEvT_T0_DpT1_.numbered_sgpr, 30
	.set _ZN2at6native12_GLOBAL__N_125multi_tensor_apply_kernelINS1_28TensorListScalarListMetadataIfLi3EEENS1_26TernaryOpScalarListFunctorIN3c108BFloat16ELi3ELi2ELi2EEEJNS0_11LerpFunctorIfEEEEEvT_T0_DpT1_.num_named_barrier, 0
	.set _ZN2at6native12_GLOBAL__N_125multi_tensor_apply_kernelINS1_28TensorListScalarListMetadataIfLi3EEENS1_26TernaryOpScalarListFunctorIN3c108BFloat16ELi3ELi2ELi2EEEJNS0_11LerpFunctorIfEEEEEvT_T0_DpT1_.private_seg_size, 0
	.set _ZN2at6native12_GLOBAL__N_125multi_tensor_apply_kernelINS1_28TensorListScalarListMetadataIfLi3EEENS1_26TernaryOpScalarListFunctorIN3c108BFloat16ELi3ELi2ELi2EEEJNS0_11LerpFunctorIfEEEEEvT_T0_DpT1_.uses_vcc, 1
	.set _ZN2at6native12_GLOBAL__N_125multi_tensor_apply_kernelINS1_28TensorListScalarListMetadataIfLi3EEENS1_26TernaryOpScalarListFunctorIN3c108BFloat16ELi3ELi2ELi2EEEJNS0_11LerpFunctorIfEEEEEvT_T0_DpT1_.uses_flat_scratch, 0
	.set _ZN2at6native12_GLOBAL__N_125multi_tensor_apply_kernelINS1_28TensorListScalarListMetadataIfLi3EEENS1_26TernaryOpScalarListFunctorIN3c108BFloat16ELi3ELi2ELi2EEEJNS0_11LerpFunctorIfEEEEEvT_T0_DpT1_.has_dyn_sized_stack, 0
	.set _ZN2at6native12_GLOBAL__N_125multi_tensor_apply_kernelINS1_28TensorListScalarListMetadataIfLi3EEENS1_26TernaryOpScalarListFunctorIN3c108BFloat16ELi3ELi2ELi2EEEJNS0_11LerpFunctorIfEEEEEvT_T0_DpT1_.has_recursion, 0
	.set _ZN2at6native12_GLOBAL__N_125multi_tensor_apply_kernelINS1_28TensorListScalarListMetadataIfLi3EEENS1_26TernaryOpScalarListFunctorIN3c108BFloat16ELi3ELi2ELi2EEEJNS0_11LerpFunctorIfEEEEEvT_T0_DpT1_.has_indirect_call, 0
	.section	.AMDGPU.csdata,"",@progbits
; Kernel info:
; codeLenInByte = 2076
; TotalNumSgprs: 36
; NumVgprs: 43
; NumAgprs: 0
; TotalNumVgprs: 43
; ScratchSize: 0
; MemoryBound: 0
; FloatMode: 240
; IeeeMode: 1
; LDSByteSize: 0 bytes/workgroup (compile time only)
; SGPRBlocks: 4
; VGPRBlocks: 5
; NumSGPRsForWavesPerEU: 36
; NumVGPRsForWavesPerEU: 43
; AccumOffset: 44
; Occupancy: 8
; WaveLimiterHint : 0
; COMPUTE_PGM_RSRC2:SCRATCH_EN: 0
; COMPUTE_PGM_RSRC2:USER_SGPR: 2
; COMPUTE_PGM_RSRC2:TRAP_HANDLER: 0
; COMPUTE_PGM_RSRC2:TGID_X_EN: 1
; COMPUTE_PGM_RSRC2:TGID_Y_EN: 0
; COMPUTE_PGM_RSRC2:TGID_Z_EN: 0
; COMPUTE_PGM_RSRC2:TIDIG_COMP_CNT: 0
; COMPUTE_PGM_RSRC3_GFX90A:ACCUM_OFFSET: 10
; COMPUTE_PGM_RSRC3_GFX90A:TG_SPLIT: 0
	.section	.text._ZN2at6native12_GLOBAL__N_125multi_tensor_apply_kernelINS1_28TensorListScalarListMetadataIdLi2EEENS1_26TernaryOpScalarListFunctorIdLi2ELi2ELi0EEEJNS0_11LerpFunctorIdEEEEEvT_T0_DpT1_,"axG",@progbits,_ZN2at6native12_GLOBAL__N_125multi_tensor_apply_kernelINS1_28TensorListScalarListMetadataIdLi2EEENS1_26TernaryOpScalarListFunctorIdLi2ELi2ELi0EEEJNS0_11LerpFunctorIdEEEEEvT_T0_DpT1_,comdat
	.globl	_ZN2at6native12_GLOBAL__N_125multi_tensor_apply_kernelINS1_28TensorListScalarListMetadataIdLi2EEENS1_26TernaryOpScalarListFunctorIdLi2ELi2ELi0EEEJNS0_11LerpFunctorIdEEEEEvT_T0_DpT1_ ; -- Begin function _ZN2at6native12_GLOBAL__N_125multi_tensor_apply_kernelINS1_28TensorListScalarListMetadataIdLi2EEENS1_26TernaryOpScalarListFunctorIdLi2ELi2ELi0EEEJNS0_11LerpFunctorIdEEEEEvT_T0_DpT1_
	.p2align	8
	.type	_ZN2at6native12_GLOBAL__N_125multi_tensor_apply_kernelINS1_28TensorListScalarListMetadataIdLi2EEENS1_26TernaryOpScalarListFunctorIdLi2ELi2ELi0EEEJNS0_11LerpFunctorIdEEEEEvT_T0_DpT1_,@function
_ZN2at6native12_GLOBAL__N_125multi_tensor_apply_kernelINS1_28TensorListScalarListMetadataIdLi2EEENS1_26TernaryOpScalarListFunctorIdLi2ELi2ELi0EEEJNS0_11LerpFunctorIdEEEEEvT_T0_DpT1_: ; @_ZN2at6native12_GLOBAL__N_125multi_tensor_apply_kernelINS1_28TensorListScalarListMetadataIdLi2EEENS1_26TernaryOpScalarListFunctorIdLi2ELi2ELi0EEEJNS0_11LerpFunctorIdEEEEEvT_T0_DpT1_
; %bb.0:
	v_mov_b32_e32 v1, s2
	global_load_ubyte v1, v1, s[0:1] offset:2048
	s_add_u32 s4, s0, s2
	s_mul_hi_u32 s5, s2, 3
	s_mul_i32 s2, s2, 3
	s_addc_u32 s6, s1, 0
	s_add_u32 s4, s4, s2
	s_addc_u32 s5, s6, s5
	s_load_dword s14, s[4:5], 0x940
	s_mov_b32 s3, 0
	s_mov_b32 s13, s3
	s_waitcnt lgkmcnt(0)
	s_ashr_i32 s15, s14, 31
	s_lshl_b64 s[10:11], s[14:15], 19
	s_lshl_b64 s[14:15], s[14:15], 16
	s_waitcnt vmcnt(0)
	v_readfirstlane_b32 s2, v1
	s_lshl_b32 s2, s2, 3
	s_load_dwordx2 s[16:17], s[0:1], s2 offset:0x400
	s_load_dwordx2 s[4:5], s[0:1], s2 offset:0x0
	;; [unrolled: 1-line block ×4, first 2 shown]
	s_waitcnt lgkmcnt(0)
	s_add_u32 s2, s4, s10
	s_and_b32 s2, s2, 31
	s_and_b32 s12, s6, 31
	s_sub_u32 s14, s16, s14
	s_subb_u32 s15, s17, s15
	s_and_b32 s16, s16, 3
	s_mov_b32 s17, s3
	s_or_b64 s[12:13], s[12:13], s[16:17]
	s_or_b64 s[2:3], s[12:13], s[2:3]
	s_cmp_eq_u64 s[2:3], 0
	s_mov_b64 s[2:3], -1
	s_cbranch_scc0 .LBB30_5
; %bb.1:
	v_mov_b64_e32 v[2:3], 0x10000
	v_cmp_lt_i64_e32 vcc, s[14:15], v[2:3]
	s_and_b64 s[2:3], vcc, exec
	v_mov_b32_e32 v5, 0
	s_cselect_b32 s13, s15, 0
	s_cselect_b32 s12, s14, 0x10000
	v_lshlrev_b32_e32 v4, 2, v0
	v_cmp_gt_i64_e32 vcc, s[12:13], v[4:5]
	s_and_saveexec_b64 s[16:17], vcc
	s_cbranch_execz .LBB30_4
; %bb.2:
	s_load_dword s2, s[0:1], 0xe54
	v_mov_b32_e32 v1, v5
	s_mov_b32 s19, 0
	v_lshlrev_b32_e32 v4, 5, v0
	v_cmp_lt_f64_e64 vcc, |s[8:9]|, 0.5
	s_waitcnt lgkmcnt(0)
	s_and_b32 s18, s2, 0xffff
	v_add_f64 v[2:3], -s[8:9], 1.0
	v_lshl_add_u64 v[4:5], s[10:11], 0, v[4:5]
	s_lshl_b32 s20, s18, 5
	s_mov_b32 s21, s19
	s_mov_b64 s[22:23], 0
	v_mov_b64_e32 v[6:7], v[0:1]
.LBB30_3:                               ; =>This Inner Loop Header: Depth=1
	v_lshl_add_u64 v[26:27], s[6:7], 0, v[4:5]
	v_lshl_add_u64 v[24:25], s[4:5], 0, v[4:5]
	global_load_dwordx4 v[8:11], v[26:27], off
	global_load_dwordx4 v[12:15], v[24:25], off
	global_load_dwordx4 v[16:19], v[24:25], off offset:16
	global_load_dwordx4 v[20:23], v[26:27], off offset:16
	v_lshl_add_u64 v[6:7], v[6:7], 0, s[18:19]
	v_lshlrev_b64 v[26:27], 2, v[6:7]
	v_cmp_le_i64_e64 s[2:3], s[12:13], v[26:27]
	v_lshl_add_u64 v[4:5], v[4:5], 0, s[20:21]
	s_or_b64 s[22:23], s[2:3], s[22:23]
	s_waitcnt vmcnt(2)
	v_add_f64 v[26:27], v[8:9], -v[12:13]
	v_add_f64 v[28:29], v[10:11], -v[14:15]
	s_waitcnt vmcnt(0)
	v_add_f64 v[30:31], v[20:21], -v[16:17]
	v_add_f64 v[32:33], v[22:23], -v[18:19]
	v_fmac_f64_e32 v[12:13], s[8:9], v[26:27]
	v_fma_f64 v[8:9], -v[2:3], v[26:27], v[8:9]
	v_fmac_f64_e32 v[14:15], s[8:9], v[28:29]
	v_fma_f64 v[10:11], -v[2:3], v[28:29], v[10:11]
	;; [unrolled: 2-line block ×4, first 2 shown]
	v_cndmask_b32_e32 v9, v9, v13, vcc
	v_cndmask_b32_e32 v8, v8, v12, vcc
	v_cndmask_b32_e32 v11, v11, v15, vcc
	v_cndmask_b32_e32 v10, v10, v14, vcc
	v_cndmask_b32_e32 v13, v21, v17, vcc
	v_cndmask_b32_e32 v12, v20, v16, vcc
	v_cndmask_b32_e32 v15, v23, v19, vcc
	v_cndmask_b32_e32 v14, v22, v18, vcc
	global_store_dwordx4 v[24:25], v[8:11], off
	global_store_dwordx4 v[24:25], v[12:15], off offset:16
	s_andn2_b64 exec, exec, s[22:23]
	s_cbranch_execnz .LBB30_3
.LBB30_4:
	s_or_b64 exec, exec, s[16:17]
	s_mov_b64 s[2:3], 0
.LBB30_5:
	s_andn2_b64 vcc, exec, s[2:3]
	s_cbranch_vccnz .LBB30_25
; %bb.6:
	v_cmp_lt_i64_e64 s[2:3], s[14:15], 1
	s_and_b64 vcc, exec, s[2:3]
	s_cbranch_vccnz .LBB30_25
; %bb.7:
	s_load_dword s2, s[0:1], 0xe54
	v_mov_b64_e32 v[2:3], 0x10000
	v_cmp_lt_i64_e32 vcc, s[14:15], v[2:3]
	s_and_b64 s[0:1], vcc, exec
	s_mov_b32 s3, 0
	s_cselect_b32 s13, s15, 0
	s_cselect_b32 s12, s14, 0x10000
	s_waitcnt lgkmcnt(0)
	s_and_b32 s2, s2, 0xffff
	v_cmp_lt_u64_e32 vcc, s[14:15], v[2:3]
	v_mov_b32_e32 v1, 0
	s_and_b64 s[0:1], vcc, exec
	s_mul_i32 s20, s2, 3
	s_mov_b32 s21, s3
	s_cselect_b32 s15, s15, 0
	s_cselect_b32 s14, s14, 0x10000
	v_lshlrev_b32_e32 v14, 3, v0
	v_mov_b32_e32 v15, v1
	v_lshl_add_u64 v[12:13], s[20:21], 0, v[0:1]
	s_lshl_b32 s20, s2, 4
	v_lshl_add_u64 v[20:21], v[0:1], 0, s[2:3]
	s_lshl_b32 s18, s2, 1
	s_mov_b32 s19, s3
	v_mad_u64_u32 v[10:11], s[24:25], s2, 24, v[14:15]
	v_lshl_add_u64 v[16:17], s[20:21], 0, v[14:15]
	v_lshlrev_b32_e32 v24, 3, v20
	v_mov_b32_e32 v25, v1
	v_cmp_lt_f64_e64 s[0:1], |s[8:9]|, 0.5
	v_add_f64 v[2:3], -s[8:9], 1.0
	s_lshl_b32 s22, s2, 2
	v_lshl_add_u64 v[4:5], s[4:5], 0, v[14:15]
	s_lshl_b32 s16, s2, 5
	s_mov_b32 s17, s3
	v_lshl_add_u64 v[6:7], s[6:7], 0, v[14:15]
	v_lshl_add_u64 v[8:9], s[4:5], 0, v[10:11]
	;; [unrolled: 1-line block ×8, first 2 shown]
	s_mov_b64 s[18:19], 0
	s_branch .LBB30_9
.LBB30_8:                               ;   in Loop: Header=BB30_9 Depth=1
	s_or_b64 exec, exec, s[2:3]
	s_add_u32 s18, s18, s22
	s_addc_u32 s19, s19, 0
	s_waitcnt vmcnt(0)
	v_mov_b64_e32 v[26:27], s[12:13]
	v_cmp_ge_i64_e32 vcc, s[18:19], v[26:27]
	v_lshl_add_u64 v[4:5], v[4:5], 0, s[16:17]
	v_lshl_add_u64 v[6:7], v[6:7], 0, s[16:17]
	;; [unrolled: 1-line block ×8, first 2 shown]
	s_cbranch_vccnz .LBB30_25
.LBB30_9:                               ; =>This Inner Loop Header: Depth=1
	v_lshl_add_u64 v[26:27], v[0:1], 0, s[18:19]
	v_cmp_gt_u64_e32 vcc, s[14:15], v[26:27]
	v_mov_b64_e32 v[26:27], 0
	v_mov_b64_e32 v[32:33], 0
	;; [unrolled: 1-line block ×3, first 2 shown]
	s_and_saveexec_b64 s[2:3], vcc
	s_cbranch_execz .LBB30_11
; %bb.10:                               ;   in Loop: Header=BB30_9 Depth=1
	v_lshl_add_u64 v[34:35], v[4:5], 0, s[10:11]
	v_lshl_add_u64 v[28:29], v[6:7], 0, s[10:11]
	global_load_dwordx2 v[30:31], v[34:35], off
	global_load_dwordx2 v[32:33], v[28:29], off
.LBB30_11:                              ;   in Loop: Header=BB30_9 Depth=1
	s_or_b64 exec, exec, s[2:3]
	v_lshl_add_u64 v[28:29], v[20:21], 0, s[18:19]
	v_cmp_gt_u64_e64 s[2:3], s[14:15], v[28:29]
	v_mov_b64_e32 v[34:35], 0
	s_and_saveexec_b64 s[4:5], s[2:3]
	s_cbranch_execz .LBB30_13
; %bb.12:                               ;   in Loop: Header=BB30_9 Depth=1
	v_lshl_add_u64 v[36:37], v[22:23], 0, s[10:11]
	v_lshl_add_u64 v[28:29], v[24:25], 0, s[10:11]
	global_load_dwordx2 v[34:35], v[36:37], off
	global_load_dwordx2 v[26:27], v[28:29], off
.LBB30_13:                              ;   in Loop: Header=BB30_9 Depth=1
	s_or_b64 exec, exec, s[4:5]
	v_lshl_add_u64 v[28:29], v[18:19], 0, s[18:19]
	v_cmp_gt_u64_e64 s[4:5], s[14:15], v[28:29]
	v_mov_b64_e32 v[28:29], 0
	v_mov_b64_e32 v[38:39], 0
	;; [unrolled: 1-line block ×3, first 2 shown]
	s_and_saveexec_b64 s[6:7], s[4:5]
	s_cbranch_execz .LBB30_15
; %bb.14:                               ;   in Loop: Header=BB30_9 Depth=1
	v_lshl_add_u64 v[42:43], v[14:15], 0, s[10:11]
	v_lshl_add_u64 v[40:41], v[16:17], 0, s[10:11]
	global_load_dwordx2 v[36:37], v[42:43], off
	global_load_dwordx2 v[38:39], v[40:41], off
.LBB30_15:                              ;   in Loop: Header=BB30_9 Depth=1
	s_or_b64 exec, exec, s[6:7]
	v_lshl_add_u64 v[40:41], v[12:13], 0, s[18:19]
	v_cmp_gt_u64_e64 s[6:7], s[14:15], v[40:41]
	v_mov_b64_e32 v[40:41], 0
	s_and_saveexec_b64 s[20:21], s[6:7]
	s_cbranch_execnz .LBB30_20
; %bb.16:                               ;   in Loop: Header=BB30_9 Depth=1
	s_or_b64 exec, exec, s[20:21]
	s_and_saveexec_b64 s[20:21], vcc
	s_cbranch_execnz .LBB30_21
.LBB30_17:                              ;   in Loop: Header=BB30_9 Depth=1
	s_or_b64 exec, exec, s[20:21]
	s_and_saveexec_b64 s[20:21], s[2:3]
	s_cbranch_execnz .LBB30_22
.LBB30_18:                              ;   in Loop: Header=BB30_9 Depth=1
	s_or_b64 exec, exec, s[20:21]
	s_and_saveexec_b64 s[2:3], s[4:5]
	s_cbranch_execnz .LBB30_23
.LBB30_19:                              ;   in Loop: Header=BB30_9 Depth=1
	s_or_b64 exec, exec, s[2:3]
	s_and_saveexec_b64 s[2:3], s[6:7]
	s_cbranch_execz .LBB30_8
	s_branch .LBB30_24
.LBB30_20:                              ;   in Loop: Header=BB30_9 Depth=1
	v_lshl_add_u64 v[44:45], v[8:9], 0, s[10:11]
	v_lshl_add_u64 v[42:43], v[10:11], 0, s[10:11]
	global_load_dwordx2 v[40:41], v[44:45], off
	global_load_dwordx2 v[28:29], v[42:43], off
	s_or_b64 exec, exec, s[20:21]
	s_and_saveexec_b64 s[20:21], vcc
	s_cbranch_execz .LBB30_17
.LBB30_21:                              ;   in Loop: Header=BB30_9 Depth=1
	s_waitcnt vmcnt(0)
	v_add_f64 v[44:45], v[32:33], -v[30:31]
	v_fmac_f64_e32 v[30:31], s[8:9], v[44:45]
	v_fma_f64 v[32:33], -v[2:3], v[44:45], v[32:33]
	v_lshl_add_u64 v[42:43], v[4:5], 0, s[10:11]
	v_cndmask_b32_e64 v31, v33, v31, s[0:1]
	v_cndmask_b32_e64 v30, v32, v30, s[0:1]
	global_store_dwordx2 v[42:43], v[30:31], off
	s_or_b64 exec, exec, s[20:21]
	s_and_saveexec_b64 s[20:21], s[2:3]
	s_cbranch_execz .LBB30_18
.LBB30_22:                              ;   in Loop: Header=BB30_9 Depth=1
	s_waitcnt vmcnt(0)
	v_add_f64 v[30:31], v[26:27], -v[34:35]
	v_fmac_f64_e32 v[34:35], s[8:9], v[30:31]
	v_fma_f64 v[26:27], -v[2:3], v[30:31], v[26:27]
	v_cndmask_b32_e64 v27, v27, v35, s[0:1]
	v_cndmask_b32_e64 v26, v26, v34, s[0:1]
	v_lshl_add_u64 v[30:31], v[22:23], 0, s[10:11]
	global_store_dwordx2 v[30:31], v[26:27], off
	s_or_b64 exec, exec, s[20:21]
	s_and_saveexec_b64 s[2:3], s[4:5]
	s_cbranch_execz .LBB30_19
.LBB30_23:                              ;   in Loop: Header=BB30_9 Depth=1
	s_waitcnt vmcnt(0)
	v_add_f64 v[26:27], v[38:39], -v[36:37]
	v_fmac_f64_e32 v[36:37], s[8:9], v[26:27]
	v_fma_f64 v[26:27], -v[2:3], v[26:27], v[38:39]
	v_cndmask_b32_e64 v27, v27, v37, s[0:1]
	v_cndmask_b32_e64 v26, v26, v36, s[0:1]
	v_lshl_add_u64 v[30:31], v[14:15], 0, s[10:11]
	global_store_dwordx2 v[30:31], v[26:27], off
	s_or_b64 exec, exec, s[2:3]
	s_and_saveexec_b64 s[2:3], s[6:7]
	s_cbranch_execz .LBB30_8
.LBB30_24:                              ;   in Loop: Header=BB30_9 Depth=1
	s_waitcnt vmcnt(0)
	v_add_f64 v[26:27], v[28:29], -v[40:41]
	v_fmac_f64_e32 v[40:41], s[8:9], v[26:27]
	v_fma_f64 v[26:27], -v[2:3], v[26:27], v[28:29]
	v_cndmask_b32_e64 v27, v27, v41, s[0:1]
	v_cndmask_b32_e64 v26, v26, v40, s[0:1]
	v_lshl_add_u64 v[28:29], v[8:9], 0, s[10:11]
	global_store_dwordx2 v[28:29], v[26:27], off
	s_branch .LBB30_8
.LBB30_25:
	s_endpgm
	.section	.rodata,"a",@progbits
	.p2align	6, 0x0
	.amdhsa_kernel _ZN2at6native12_GLOBAL__N_125multi_tensor_apply_kernelINS1_28TensorListScalarListMetadataIdLi2EEENS1_26TernaryOpScalarListFunctorIdLi2ELi2ELi0EEEJNS0_11LerpFunctorIdEEEEEvT_T0_DpT1_
		.amdhsa_group_segment_fixed_size 0
		.amdhsa_private_segment_fixed_size 0
		.amdhsa_kernarg_size 3912
		.amdhsa_user_sgpr_count 2
		.amdhsa_user_sgpr_dispatch_ptr 0
		.amdhsa_user_sgpr_queue_ptr 0
		.amdhsa_user_sgpr_kernarg_segment_ptr 1
		.amdhsa_user_sgpr_dispatch_id 0
		.amdhsa_user_sgpr_kernarg_preload_length 0
		.amdhsa_user_sgpr_kernarg_preload_offset 0
		.amdhsa_user_sgpr_private_segment_size 0
		.amdhsa_uses_dynamic_stack 0
		.amdhsa_enable_private_segment 0
		.amdhsa_system_sgpr_workgroup_id_x 1
		.amdhsa_system_sgpr_workgroup_id_y 0
		.amdhsa_system_sgpr_workgroup_id_z 0
		.amdhsa_system_sgpr_workgroup_info 0
		.amdhsa_system_vgpr_workitem_id 0
		.amdhsa_next_free_vgpr 46
		.amdhsa_next_free_sgpr 26
		.amdhsa_accum_offset 48
		.amdhsa_reserve_vcc 1
		.amdhsa_float_round_mode_32 0
		.amdhsa_float_round_mode_16_64 0
		.amdhsa_float_denorm_mode_32 3
		.amdhsa_float_denorm_mode_16_64 3
		.amdhsa_dx10_clamp 1
		.amdhsa_ieee_mode 1
		.amdhsa_fp16_overflow 0
		.amdhsa_tg_split 0
		.amdhsa_exception_fp_ieee_invalid_op 0
		.amdhsa_exception_fp_denorm_src 0
		.amdhsa_exception_fp_ieee_div_zero 0
		.amdhsa_exception_fp_ieee_overflow 0
		.amdhsa_exception_fp_ieee_underflow 0
		.amdhsa_exception_fp_ieee_inexact 0
		.amdhsa_exception_int_div_zero 0
	.end_amdhsa_kernel
	.section	.text._ZN2at6native12_GLOBAL__N_125multi_tensor_apply_kernelINS1_28TensorListScalarListMetadataIdLi2EEENS1_26TernaryOpScalarListFunctorIdLi2ELi2ELi0EEEJNS0_11LerpFunctorIdEEEEEvT_T0_DpT1_,"axG",@progbits,_ZN2at6native12_GLOBAL__N_125multi_tensor_apply_kernelINS1_28TensorListScalarListMetadataIdLi2EEENS1_26TernaryOpScalarListFunctorIdLi2ELi2ELi0EEEJNS0_11LerpFunctorIdEEEEEvT_T0_DpT1_,comdat
.Lfunc_end30:
	.size	_ZN2at6native12_GLOBAL__N_125multi_tensor_apply_kernelINS1_28TensorListScalarListMetadataIdLi2EEENS1_26TernaryOpScalarListFunctorIdLi2ELi2ELi0EEEJNS0_11LerpFunctorIdEEEEEvT_T0_DpT1_, .Lfunc_end30-_ZN2at6native12_GLOBAL__N_125multi_tensor_apply_kernelINS1_28TensorListScalarListMetadataIdLi2EEENS1_26TernaryOpScalarListFunctorIdLi2ELi2ELi0EEEJNS0_11LerpFunctorIdEEEEEvT_T0_DpT1_
                                        ; -- End function
	.set _ZN2at6native12_GLOBAL__N_125multi_tensor_apply_kernelINS1_28TensorListScalarListMetadataIdLi2EEENS1_26TernaryOpScalarListFunctorIdLi2ELi2ELi0EEEJNS0_11LerpFunctorIdEEEEEvT_T0_DpT1_.num_vgpr, 46
	.set _ZN2at6native12_GLOBAL__N_125multi_tensor_apply_kernelINS1_28TensorListScalarListMetadataIdLi2EEENS1_26TernaryOpScalarListFunctorIdLi2ELi2ELi0EEEJNS0_11LerpFunctorIdEEEEEvT_T0_DpT1_.num_agpr, 0
	.set _ZN2at6native12_GLOBAL__N_125multi_tensor_apply_kernelINS1_28TensorListScalarListMetadataIdLi2EEENS1_26TernaryOpScalarListFunctorIdLi2ELi2ELi0EEEJNS0_11LerpFunctorIdEEEEEvT_T0_DpT1_.numbered_sgpr, 26
	.set _ZN2at6native12_GLOBAL__N_125multi_tensor_apply_kernelINS1_28TensorListScalarListMetadataIdLi2EEENS1_26TernaryOpScalarListFunctorIdLi2ELi2ELi0EEEJNS0_11LerpFunctorIdEEEEEvT_T0_DpT1_.num_named_barrier, 0
	.set _ZN2at6native12_GLOBAL__N_125multi_tensor_apply_kernelINS1_28TensorListScalarListMetadataIdLi2EEENS1_26TernaryOpScalarListFunctorIdLi2ELi2ELi0EEEJNS0_11LerpFunctorIdEEEEEvT_T0_DpT1_.private_seg_size, 0
	.set _ZN2at6native12_GLOBAL__N_125multi_tensor_apply_kernelINS1_28TensorListScalarListMetadataIdLi2EEENS1_26TernaryOpScalarListFunctorIdLi2ELi2ELi0EEEJNS0_11LerpFunctorIdEEEEEvT_T0_DpT1_.uses_vcc, 1
	.set _ZN2at6native12_GLOBAL__N_125multi_tensor_apply_kernelINS1_28TensorListScalarListMetadataIdLi2EEENS1_26TernaryOpScalarListFunctorIdLi2ELi2ELi0EEEJNS0_11LerpFunctorIdEEEEEvT_T0_DpT1_.uses_flat_scratch, 0
	.set _ZN2at6native12_GLOBAL__N_125multi_tensor_apply_kernelINS1_28TensorListScalarListMetadataIdLi2EEENS1_26TernaryOpScalarListFunctorIdLi2ELi2ELi0EEEJNS0_11LerpFunctorIdEEEEEvT_T0_DpT1_.has_dyn_sized_stack, 0
	.set _ZN2at6native12_GLOBAL__N_125multi_tensor_apply_kernelINS1_28TensorListScalarListMetadataIdLi2EEENS1_26TernaryOpScalarListFunctorIdLi2ELi2ELi0EEEJNS0_11LerpFunctorIdEEEEEvT_T0_DpT1_.has_recursion, 0
	.set _ZN2at6native12_GLOBAL__N_125multi_tensor_apply_kernelINS1_28TensorListScalarListMetadataIdLi2EEENS1_26TernaryOpScalarListFunctorIdLi2ELi2ELi0EEEJNS0_11LerpFunctorIdEEEEEvT_T0_DpT1_.has_indirect_call, 0
	.section	.AMDGPU.csdata,"",@progbits
; Kernel info:
; codeLenInByte = 1484
; TotalNumSgprs: 32
; NumVgprs: 46
; NumAgprs: 0
; TotalNumVgprs: 46
; ScratchSize: 0
; MemoryBound: 0
; FloatMode: 240
; IeeeMode: 1
; LDSByteSize: 0 bytes/workgroup (compile time only)
; SGPRBlocks: 3
; VGPRBlocks: 5
; NumSGPRsForWavesPerEU: 32
; NumVGPRsForWavesPerEU: 46
; AccumOffset: 48
; Occupancy: 8
; WaveLimiterHint : 1
; COMPUTE_PGM_RSRC2:SCRATCH_EN: 0
; COMPUTE_PGM_RSRC2:USER_SGPR: 2
; COMPUTE_PGM_RSRC2:TRAP_HANDLER: 0
; COMPUTE_PGM_RSRC2:TGID_X_EN: 1
; COMPUTE_PGM_RSRC2:TGID_Y_EN: 0
; COMPUTE_PGM_RSRC2:TGID_Z_EN: 0
; COMPUTE_PGM_RSRC2:TIDIG_COMP_CNT: 0
; COMPUTE_PGM_RSRC3_GFX90A:ACCUM_OFFSET: 11
; COMPUTE_PGM_RSRC3_GFX90A:TG_SPLIT: 0
	.section	.text._ZN2at6native12_GLOBAL__N_125multi_tensor_apply_kernelINS1_28TensorListScalarListMetadataIfLi2EEENS1_26TernaryOpScalarListFunctorIfLi2ELi2ELi0EEEJNS0_11LerpFunctorIfEEEEEvT_T0_DpT1_,"axG",@progbits,_ZN2at6native12_GLOBAL__N_125multi_tensor_apply_kernelINS1_28TensorListScalarListMetadataIfLi2EEENS1_26TernaryOpScalarListFunctorIfLi2ELi2ELi0EEEJNS0_11LerpFunctorIfEEEEEvT_T0_DpT1_,comdat
	.globl	_ZN2at6native12_GLOBAL__N_125multi_tensor_apply_kernelINS1_28TensorListScalarListMetadataIfLi2EEENS1_26TernaryOpScalarListFunctorIfLi2ELi2ELi0EEEJNS0_11LerpFunctorIfEEEEEvT_T0_DpT1_ ; -- Begin function _ZN2at6native12_GLOBAL__N_125multi_tensor_apply_kernelINS1_28TensorListScalarListMetadataIfLi2EEENS1_26TernaryOpScalarListFunctorIfLi2ELi2ELi0EEEJNS0_11LerpFunctorIfEEEEEvT_T0_DpT1_
	.p2align	8
	.type	_ZN2at6native12_GLOBAL__N_125multi_tensor_apply_kernelINS1_28TensorListScalarListMetadataIfLi2EEENS1_26TernaryOpScalarListFunctorIfLi2ELi2ELi0EEEJNS0_11LerpFunctorIfEEEEEvT_T0_DpT1_,@function
_ZN2at6native12_GLOBAL__N_125multi_tensor_apply_kernelINS1_28TensorListScalarListMetadataIfLi2EEENS1_26TernaryOpScalarListFunctorIfLi2ELi2ELi0EEEJNS0_11LerpFunctorIfEEEEEvT_T0_DpT1_: ; @_ZN2at6native12_GLOBAL__N_125multi_tensor_apply_kernelINS1_28TensorListScalarListMetadataIfLi2EEENS1_26TernaryOpScalarListFunctorIfLi2ELi2ELi0EEEJNS0_11LerpFunctorIfEEEEEvT_T0_DpT1_
; %bb.0:
	v_mov_b32_e32 v1, s2
	global_load_ubyte v1, v1, s[0:1] offset:1792
	s_add_u32 s4, s0, s2
	s_mul_hi_u32 s5, s2, 3
	s_mul_i32 s2, s2, 3
	s_addc_u32 s6, s1, 0
	s_add_u32 s4, s4, s2
	s_addc_u32 s5, s6, s5
	s_load_dword s10, s[4:5], 0x840
	s_mov_b32 s3, 0
	s_mov_b32 s13, s3
	v_mov_b32_e32 v3, 0
	s_waitcnt lgkmcnt(0)
	s_ashr_i32 s11, s10, 31
	s_waitcnt vmcnt(0)
	v_readfirstlane_b32 s2, v1
	v_lshlrev_b32_e32 v1, 2, v1
	v_sub_co_u32_e32 v4, vcc, 0, v1
	s_lshl_b32 s2, s2, 3
	s_nop 0
	v_subb_co_u32_e64 v5, s[4:5], 0, 0, vcc
	s_load_dwordx2 s[16:17], s[0:1], s2 offset:0x400
	s_load_dwordx2 s[4:5], s[0:1], s2 offset:0x0
	;; [unrolled: 1-line block ×3, first 2 shown]
	s_add_u32 s14, s0, s2
	s_addc_u32 s15, s1, 0
	s_lshl_b64 s[8:9], s[10:11], 18
	v_lshl_add_u64 v[4:5], s[14:15], 0, v[4:5]
	s_waitcnt lgkmcnt(0)
	s_add_u32 s2, s4, s8
	s_lshl_b64 s[18:19], s[10:11], 16
	v_readfirstlane_b32 s10, v4
	v_readfirstlane_b32 s11, v5
	s_and_b32 s12, s6, 15
	s_and_b32 s2, s2, 15
	s_load_dword s10, s[10:11], 0x600
	s_sub_u32 s14, s16, s18
	s_subb_u32 s15, s17, s19
	s_and_b32 s16, s16, 3
	s_mov_b32 s17, s3
	s_or_b64 s[12:13], s[12:13], s[16:17]
	s_or_b64 s[2:3], s[12:13], s[2:3]
	s_cmp_eq_u64 s[2:3], 0
	s_mov_b64 s[2:3], -1
	s_cbranch_scc0 .LBB31_5
; %bb.1:
	v_mov_b64_e32 v[4:5], 0x10000
	v_cmp_lt_i64_e32 vcc, s[14:15], v[4:5]
	s_and_b64 s[2:3], vcc, exec
	s_cselect_b32 s13, s15, 0
	s_cselect_b32 s12, s14, 0x10000
	v_lshlrev_b32_e32 v2, 2, v0
	v_cmp_gt_i64_e32 vcc, s[12:13], v[2:3]
	s_and_saveexec_b64 s[16:17], vcc
	s_cbranch_execz .LBB31_4
; %bb.2:
	s_load_dword s2, s[0:1], 0xd54
	v_mov_b32_e32 v1, v3
	s_waitcnt lgkmcnt(0)
	v_sub_f32_e64 v2, 1.0, s10
	s_mov_b32 s19, 0
	v_lshlrev_b32_e32 v4, 4, v0
	s_and_b32 s18, s2, 0xffff
	s_lshl_b32 s20, s18, 4
	v_mov_b32_e32 v5, 0
	s_add_u32 s22, s4, 8
	v_cmp_lt_f32_e64 vcc, |s10|, 0.5
	s_mov_b32 s11, s10
	v_mov_b32_e32 v3, v2
	v_lshl_add_u64 v[4:5], s[8:9], 0, v[4:5]
	s_mov_b32 s21, s19
	s_addc_u32 s23, s5, 0
	s_mov_b64 s[24:25], 0
	v_mov_b64_e32 v[6:7], v[0:1]
.LBB31_3:                               ; =>This Inner Loop Header: Depth=1
	v_lshl_add_u64 v[16:17], s[22:23], 0, v[4:5]
	v_lshl_add_u64 v[18:19], s[6:7], 0, v[4:5]
	global_load_dwordx4 v[8:11], v[16:17], off offset:-8
	global_load_dwordx4 v[12:15], v[18:19], off
	v_lshl_add_u64 v[6:7], v[6:7], 0, s[18:19]
	v_lshlrev_b64 v[18:19], 2, v[6:7]
	v_cmp_le_i64_e64 s[2:3], s[12:13], v[18:19]
	v_lshl_add_u64 v[4:5], v[4:5], 0, s[20:21]
	s_or_b64 s[24:25], s[2:3], s[24:25]
	s_waitcnt vmcnt(0)
	v_pk_add_f32 v[18:19], v[12:13], v[8:9] neg_lo:[0,1] neg_hi:[0,1]
	v_pk_add_f32 v[20:21], v[14:15], v[10:11] neg_lo:[0,1] neg_hi:[0,1]
	v_pk_fma_f32 v[8:9], s[10:11], v[18:19], v[8:9]
	v_pk_fma_f32 v[12:13], v[2:3], v[18:19], v[12:13] neg_lo:[1,0,0] neg_hi:[1,0,0]
	v_pk_fma_f32 v[10:11], s[10:11], v[20:21], v[10:11]
	v_pk_fma_f32 v[14:15], v[2:3], v[20:21], v[14:15] neg_lo:[1,0,0] neg_hi:[1,0,0]
	v_cndmask_b32_e32 v9, v13, v9, vcc
	v_cndmask_b32_e32 v8, v12, v8, vcc
	v_cndmask_b32_e32 v11, v15, v11, vcc
	v_cndmask_b32_e32 v10, v14, v10, vcc
	global_store_dwordx4 v[16:17], v[8:11], off offset:-8
	s_andn2_b64 exec, exec, s[24:25]
	s_cbranch_execnz .LBB31_3
.LBB31_4:
	s_or_b64 exec, exec, s[16:17]
	s_mov_b64 s[2:3], 0
.LBB31_5:
	s_andn2_b64 vcc, exec, s[2:3]
	s_cbranch_vccnz .LBB31_25
; %bb.6:
	v_cmp_lt_i64_e64 s[2:3], s[14:15], 1
	s_and_b64 vcc, exec, s[2:3]
	s_cbranch_vccnz .LBB31_25
; %bb.7:
	s_load_dword s2, s[0:1], 0xd54
	v_mov_b64_e32 v[2:3], 0x10000
	v_cmp_lt_i64_e32 vcc, s[14:15], v[2:3]
	s_and_b64 s[0:1], vcc, exec
	s_mov_b32 s3, 0
	s_cselect_b32 s13, s15, 0
	s_cselect_b32 s12, s14, 0x10000
	s_waitcnt lgkmcnt(0)
	s_and_b32 s2, s2, 0xffff
	v_cmp_lt_u64_e32 vcc, s[14:15], v[2:3]
	v_mov_b32_e32 v1, 0
	s_and_b64 s[0:1], vcc, exec
	s_mul_i32 s20, s2, 3
	s_mov_b32 s21, s3
	s_cselect_b32 s15, s15, 0
	s_cselect_b32 s14, s14, 0x10000
	v_lshlrev_b32_e32 v12, 2, v0
	v_mov_b32_e32 v13, v1
	v_lshl_add_u64 v[10:11], s[20:21], 0, v[0:1]
	s_lshl_b32 s20, s2, 3
	v_lshl_add_u64 v[18:19], v[0:1], 0, s[2:3]
	s_lshl_b32 s18, s2, 1
	s_mov_b32 s19, s3
	v_mad_u64_u32 v[8:9], s[22:23], s2, 12, v[12:13]
	v_lshl_add_u64 v[14:15], s[20:21], 0, v[12:13]
	v_lshlrev_b32_e32 v22, 2, v18
	v_mov_b32_e32 v23, v1
	v_cmp_lt_f32_e64 s[0:1], |s10|, 0.5
	v_sub_f32_e64 v24, 1.0, s10
	s_lshl_b32 s11, s2, 2
	v_lshl_add_u64 v[2:3], s[4:5], 0, v[12:13]
	s_lshl_b32 s16, s2, 4
	s_mov_b32 s17, s3
	v_lshl_add_u64 v[4:5], s[6:7], 0, v[12:13]
	v_lshl_add_u64 v[6:7], s[4:5], 0, v[8:9]
	;; [unrolled: 1-line block ×8, first 2 shown]
	s_mov_b64 s[18:19], 0
	s_branch .LBB31_9
.LBB31_8:                               ;   in Loop: Header=BB31_9 Depth=1
	s_or_b64 exec, exec, s[2:3]
	s_add_u32 s18, s18, s11
	s_addc_u32 s19, s19, 0
	s_waitcnt vmcnt(0)
	v_mov_b64_e32 v[26:27], s[12:13]
	v_cmp_ge_i64_e32 vcc, s[18:19], v[26:27]
	v_lshl_add_u64 v[2:3], v[2:3], 0, s[16:17]
	v_lshl_add_u64 v[4:5], v[4:5], 0, s[16:17]
	;; [unrolled: 1-line block ×8, first 2 shown]
	s_cbranch_vccnz .LBB31_25
.LBB31_9:                               ; =>This Inner Loop Header: Depth=1
	v_lshl_add_u64 v[26:27], v[0:1], 0, s[18:19]
	v_cmp_gt_u64_e32 vcc, s[14:15], v[26:27]
	v_mov_b32_e32 v27, 0
	v_mov_b32_e32 v26, 0
	s_and_saveexec_b64 s[2:3], vcc
	s_cbranch_execz .LBB31_11
; %bb.10:                               ;   in Loop: Header=BB31_9 Depth=1
	v_lshl_add_u64 v[30:31], v[2:3], 0, s[8:9]
	v_lshl_add_u64 v[28:29], v[4:5], 0, s[8:9]
	global_load_dword v26, v[30:31], off
	global_load_dword v27, v[28:29], off
.LBB31_11:                              ;   in Loop: Header=BB31_9 Depth=1
	s_or_b64 exec, exec, s[2:3]
	v_lshl_add_u64 v[28:29], v[18:19], 0, s[18:19]
	v_cmp_gt_u64_e64 s[2:3], s[14:15], v[28:29]
	v_mov_b32_e32 v25, 0
	v_mov_b32_e32 v29, 0
	;; [unrolled: 1-line block ×3, first 2 shown]
	s_and_saveexec_b64 s[4:5], s[2:3]
	s_cbranch_execz .LBB31_13
; %bb.12:                               ;   in Loop: Header=BB31_9 Depth=1
	v_lshl_add_u64 v[32:33], v[20:21], 0, s[8:9]
	v_lshl_add_u64 v[30:31], v[22:23], 0, s[8:9]
	global_load_dword v28, v[32:33], off
	global_load_dword v29, v[30:31], off
.LBB31_13:                              ;   in Loop: Header=BB31_9 Depth=1
	s_or_b64 exec, exec, s[4:5]
	v_lshl_add_u64 v[30:31], v[16:17], 0, s[18:19]
	v_cmp_gt_u64_e64 s[4:5], s[14:15], v[30:31]
	v_mov_b32_e32 v30, 0
	s_and_saveexec_b64 s[6:7], s[4:5]
	s_cbranch_execz .LBB31_15
; %bb.14:                               ;   in Loop: Header=BB31_9 Depth=1
	v_lshl_add_u64 v[34:35], v[12:13], 0, s[8:9]
	v_lshl_add_u64 v[32:33], v[14:15], 0, s[8:9]
	global_load_dword v30, v[34:35], off
	global_load_dword v25, v[32:33], off
.LBB31_15:                              ;   in Loop: Header=BB31_9 Depth=1
	s_or_b64 exec, exec, s[6:7]
	v_lshl_add_u64 v[32:33], v[10:11], 0, s[18:19]
	v_cmp_gt_u64_e64 s[6:7], s[14:15], v[32:33]
	v_mov_b32_e32 v31, 0
	v_mov_b32_e32 v32, 0
	s_and_saveexec_b64 s[20:21], s[6:7]
	s_cbranch_execnz .LBB31_20
; %bb.16:                               ;   in Loop: Header=BB31_9 Depth=1
	s_or_b64 exec, exec, s[20:21]
	s_and_saveexec_b64 s[20:21], vcc
	s_cbranch_execnz .LBB31_21
.LBB31_17:                              ;   in Loop: Header=BB31_9 Depth=1
	s_or_b64 exec, exec, s[20:21]
	s_and_saveexec_b64 s[20:21], s[2:3]
	s_cbranch_execnz .LBB31_22
.LBB31_18:                              ;   in Loop: Header=BB31_9 Depth=1
	s_or_b64 exec, exec, s[20:21]
	s_and_saveexec_b64 s[2:3], s[4:5]
	s_cbranch_execnz .LBB31_23
.LBB31_19:                              ;   in Loop: Header=BB31_9 Depth=1
	s_or_b64 exec, exec, s[2:3]
	s_and_saveexec_b64 s[2:3], s[6:7]
	s_cbranch_execz .LBB31_8
	s_branch .LBB31_24
.LBB31_20:                              ;   in Loop: Header=BB31_9 Depth=1
	v_lshl_add_u64 v[36:37], v[6:7], 0, s[8:9]
	v_lshl_add_u64 v[34:35], v[8:9], 0, s[8:9]
	global_load_dword v32, v[36:37], off
	global_load_dword v31, v[34:35], off
	s_or_b64 exec, exec, s[20:21]
	s_and_saveexec_b64 s[20:21], vcc
	s_cbranch_execz .LBB31_17
.LBB31_21:                              ;   in Loop: Header=BB31_9 Depth=1
	s_waitcnt vmcnt(0)
	v_sub_f32_e32 v33, v27, v26
	v_fmac_f32_e32 v26, s10, v33
	v_fma_f32 v27, -v24, v33, v27
	v_lshl_add_u64 v[34:35], v[2:3], 0, s[8:9]
	v_cndmask_b32_e64 v26, v27, v26, s[0:1]
	global_store_dword v[34:35], v26, off
	s_or_b64 exec, exec, s[20:21]
	s_and_saveexec_b64 s[20:21], s[2:3]
	s_cbranch_execz .LBB31_18
.LBB31_22:                              ;   in Loop: Header=BB31_9 Depth=1
	s_waitcnt vmcnt(0)
	v_sub_f32_e32 v26, v29, v28
	v_fmac_f32_e32 v28, s10, v26
	v_fma_f32 v26, -v24, v26, v29
	v_cndmask_b32_e64 v28, v26, v28, s[0:1]
	v_lshl_add_u64 v[26:27], v[20:21], 0, s[8:9]
	global_store_dword v[26:27], v28, off
	s_or_b64 exec, exec, s[20:21]
	s_and_saveexec_b64 s[2:3], s[4:5]
	s_cbranch_execz .LBB31_19
.LBB31_23:                              ;   in Loop: Header=BB31_9 Depth=1
	s_waitcnt vmcnt(0)
	v_sub_f32_e32 v26, v25, v30
	v_fmac_f32_e32 v30, s10, v26
	v_fma_f32 v25, -v24, v26, v25
	v_cndmask_b32_e64 v25, v25, v30, s[0:1]
	v_lshl_add_u64 v[26:27], v[12:13], 0, s[8:9]
	global_store_dword v[26:27], v25, off
	s_or_b64 exec, exec, s[2:3]
	s_and_saveexec_b64 s[2:3], s[6:7]
	s_cbranch_execz .LBB31_8
.LBB31_24:                              ;   in Loop: Header=BB31_9 Depth=1
	s_waitcnt vmcnt(0)
	v_sub_f32_e32 v25, v31, v32
	v_fmac_f32_e32 v32, s10, v25
	v_fma_f32 v25, -v24, v25, v31
	v_cndmask_b32_e64 v25, v25, v32, s[0:1]
	v_lshl_add_u64 v[26:27], v[6:7], 0, s[8:9]
	global_store_dword v[26:27], v25, off
	s_branch .LBB31_8
.LBB31_25:
	s_endpgm
	.section	.rodata,"a",@progbits
	.p2align	6, 0x0
	.amdhsa_kernel _ZN2at6native12_GLOBAL__N_125multi_tensor_apply_kernelINS1_28TensorListScalarListMetadataIfLi2EEENS1_26TernaryOpScalarListFunctorIfLi2ELi2ELi0EEEJNS0_11LerpFunctorIfEEEEEvT_T0_DpT1_
		.amdhsa_group_segment_fixed_size 0
		.amdhsa_private_segment_fixed_size 0
		.amdhsa_kernarg_size 3656
		.amdhsa_user_sgpr_count 2
		.amdhsa_user_sgpr_dispatch_ptr 0
		.amdhsa_user_sgpr_queue_ptr 0
		.amdhsa_user_sgpr_kernarg_segment_ptr 1
		.amdhsa_user_sgpr_dispatch_id 0
		.amdhsa_user_sgpr_kernarg_preload_length 0
		.amdhsa_user_sgpr_kernarg_preload_offset 0
		.amdhsa_user_sgpr_private_segment_size 0
		.amdhsa_uses_dynamic_stack 0
		.amdhsa_enable_private_segment 0
		.amdhsa_system_sgpr_workgroup_id_x 1
		.amdhsa_system_sgpr_workgroup_id_y 0
		.amdhsa_system_sgpr_workgroup_id_z 0
		.amdhsa_system_sgpr_workgroup_info 0
		.amdhsa_system_vgpr_workitem_id 0
		.amdhsa_next_free_vgpr 38
		.amdhsa_next_free_sgpr 26
		.amdhsa_accum_offset 40
		.amdhsa_reserve_vcc 1
		.amdhsa_float_round_mode_32 0
		.amdhsa_float_round_mode_16_64 0
		.amdhsa_float_denorm_mode_32 3
		.amdhsa_float_denorm_mode_16_64 3
		.amdhsa_dx10_clamp 1
		.amdhsa_ieee_mode 1
		.amdhsa_fp16_overflow 0
		.amdhsa_tg_split 0
		.amdhsa_exception_fp_ieee_invalid_op 0
		.amdhsa_exception_fp_denorm_src 0
		.amdhsa_exception_fp_ieee_div_zero 0
		.amdhsa_exception_fp_ieee_overflow 0
		.amdhsa_exception_fp_ieee_underflow 0
		.amdhsa_exception_fp_ieee_inexact 0
		.amdhsa_exception_int_div_zero 0
	.end_amdhsa_kernel
	.section	.text._ZN2at6native12_GLOBAL__N_125multi_tensor_apply_kernelINS1_28TensorListScalarListMetadataIfLi2EEENS1_26TernaryOpScalarListFunctorIfLi2ELi2ELi0EEEJNS0_11LerpFunctorIfEEEEEvT_T0_DpT1_,"axG",@progbits,_ZN2at6native12_GLOBAL__N_125multi_tensor_apply_kernelINS1_28TensorListScalarListMetadataIfLi2EEENS1_26TernaryOpScalarListFunctorIfLi2ELi2ELi0EEEJNS0_11LerpFunctorIfEEEEEvT_T0_DpT1_,comdat
.Lfunc_end31:
	.size	_ZN2at6native12_GLOBAL__N_125multi_tensor_apply_kernelINS1_28TensorListScalarListMetadataIfLi2EEENS1_26TernaryOpScalarListFunctorIfLi2ELi2ELi0EEEJNS0_11LerpFunctorIfEEEEEvT_T0_DpT1_, .Lfunc_end31-_ZN2at6native12_GLOBAL__N_125multi_tensor_apply_kernelINS1_28TensorListScalarListMetadataIfLi2EEENS1_26TernaryOpScalarListFunctorIfLi2ELi2ELi0EEEJNS0_11LerpFunctorIfEEEEEvT_T0_DpT1_
                                        ; -- End function
	.set _ZN2at6native12_GLOBAL__N_125multi_tensor_apply_kernelINS1_28TensorListScalarListMetadataIfLi2EEENS1_26TernaryOpScalarListFunctorIfLi2ELi2ELi0EEEJNS0_11LerpFunctorIfEEEEEvT_T0_DpT1_.num_vgpr, 38
	.set _ZN2at6native12_GLOBAL__N_125multi_tensor_apply_kernelINS1_28TensorListScalarListMetadataIfLi2EEENS1_26TernaryOpScalarListFunctorIfLi2ELi2ELi0EEEJNS0_11LerpFunctorIfEEEEEvT_T0_DpT1_.num_agpr, 0
	.set _ZN2at6native12_GLOBAL__N_125multi_tensor_apply_kernelINS1_28TensorListScalarListMetadataIfLi2EEENS1_26TernaryOpScalarListFunctorIfLi2ELi2ELi0EEEJNS0_11LerpFunctorIfEEEEEvT_T0_DpT1_.numbered_sgpr, 26
	.set _ZN2at6native12_GLOBAL__N_125multi_tensor_apply_kernelINS1_28TensorListScalarListMetadataIfLi2EEENS1_26TernaryOpScalarListFunctorIfLi2ELi2ELi0EEEJNS0_11LerpFunctorIfEEEEEvT_T0_DpT1_.num_named_barrier, 0
	.set _ZN2at6native12_GLOBAL__N_125multi_tensor_apply_kernelINS1_28TensorListScalarListMetadataIfLi2EEENS1_26TernaryOpScalarListFunctorIfLi2ELi2ELi0EEEJNS0_11LerpFunctorIfEEEEEvT_T0_DpT1_.private_seg_size, 0
	.set _ZN2at6native12_GLOBAL__N_125multi_tensor_apply_kernelINS1_28TensorListScalarListMetadataIfLi2EEENS1_26TernaryOpScalarListFunctorIfLi2ELi2ELi0EEEJNS0_11LerpFunctorIfEEEEEvT_T0_DpT1_.uses_vcc, 1
	.set _ZN2at6native12_GLOBAL__N_125multi_tensor_apply_kernelINS1_28TensorListScalarListMetadataIfLi2EEENS1_26TernaryOpScalarListFunctorIfLi2ELi2ELi0EEEJNS0_11LerpFunctorIfEEEEEvT_T0_DpT1_.uses_flat_scratch, 0
	.set _ZN2at6native12_GLOBAL__N_125multi_tensor_apply_kernelINS1_28TensorListScalarListMetadataIfLi2EEENS1_26TernaryOpScalarListFunctorIfLi2ELi2ELi0EEEJNS0_11LerpFunctorIfEEEEEvT_T0_DpT1_.has_dyn_sized_stack, 0
	.set _ZN2at6native12_GLOBAL__N_125multi_tensor_apply_kernelINS1_28TensorListScalarListMetadataIfLi2EEENS1_26TernaryOpScalarListFunctorIfLi2ELi2ELi0EEEJNS0_11LerpFunctorIfEEEEEvT_T0_DpT1_.has_recursion, 0
	.set _ZN2at6native12_GLOBAL__N_125multi_tensor_apply_kernelINS1_28TensorListScalarListMetadataIfLi2EEENS1_26TernaryOpScalarListFunctorIfLi2ELi2ELi0EEEJNS0_11LerpFunctorIfEEEEEvT_T0_DpT1_.has_indirect_call, 0
	.section	.AMDGPU.csdata,"",@progbits
; Kernel info:
; codeLenInByte = 1424
; TotalNumSgprs: 32
; NumVgprs: 38
; NumAgprs: 0
; TotalNumVgprs: 38
; ScratchSize: 0
; MemoryBound: 0
; FloatMode: 240
; IeeeMode: 1
; LDSByteSize: 0 bytes/workgroup (compile time only)
; SGPRBlocks: 3
; VGPRBlocks: 4
; NumSGPRsForWavesPerEU: 32
; NumVGPRsForWavesPerEU: 38
; AccumOffset: 40
; Occupancy: 8
; WaveLimiterHint : 0
; COMPUTE_PGM_RSRC2:SCRATCH_EN: 0
; COMPUTE_PGM_RSRC2:USER_SGPR: 2
; COMPUTE_PGM_RSRC2:TRAP_HANDLER: 0
; COMPUTE_PGM_RSRC2:TGID_X_EN: 1
; COMPUTE_PGM_RSRC2:TGID_Y_EN: 0
; COMPUTE_PGM_RSRC2:TGID_Z_EN: 0
; COMPUTE_PGM_RSRC2:TIDIG_COMP_CNT: 0
; COMPUTE_PGM_RSRC3_GFX90A:ACCUM_OFFSET: 9
; COMPUTE_PGM_RSRC3_GFX90A:TG_SPLIT: 0
	.section	.text._ZN2at6native12_GLOBAL__N_125multi_tensor_apply_kernelINS1_28TensorListScalarListMetadataIN3c107complexIdEELi2EEENS1_26TernaryOpScalarListFunctorIS6_Li2ELi2ELi0EEEJNS0_11LerpFunctorIS6_EEEEEvT_T0_DpT1_,"axG",@progbits,_ZN2at6native12_GLOBAL__N_125multi_tensor_apply_kernelINS1_28TensorListScalarListMetadataIN3c107complexIdEELi2EEENS1_26TernaryOpScalarListFunctorIS6_Li2ELi2ELi0EEEJNS0_11LerpFunctorIS6_EEEEEvT_T0_DpT1_,comdat
	.globl	_ZN2at6native12_GLOBAL__N_125multi_tensor_apply_kernelINS1_28TensorListScalarListMetadataIN3c107complexIdEELi2EEENS1_26TernaryOpScalarListFunctorIS6_Li2ELi2ELi0EEEJNS0_11LerpFunctorIS6_EEEEEvT_T0_DpT1_ ; -- Begin function _ZN2at6native12_GLOBAL__N_125multi_tensor_apply_kernelINS1_28TensorListScalarListMetadataIN3c107complexIdEELi2EEENS1_26TernaryOpScalarListFunctorIS6_Li2ELi2ELi0EEEJNS0_11LerpFunctorIS6_EEEEEvT_T0_DpT1_
	.p2align	8
	.type	_ZN2at6native12_GLOBAL__N_125multi_tensor_apply_kernelINS1_28TensorListScalarListMetadataIN3c107complexIdEELi2EEENS1_26TernaryOpScalarListFunctorIS6_Li2ELi2ELi0EEEJNS0_11LerpFunctorIS6_EEEEEvT_T0_DpT1_,@function
_ZN2at6native12_GLOBAL__N_125multi_tensor_apply_kernelINS1_28TensorListScalarListMetadataIN3c107complexIdEELi2EEENS1_26TernaryOpScalarListFunctorIS6_Li2ELi2ELi0EEEJNS0_11LerpFunctorIS6_EEEEEvT_T0_DpT1_: ; @_ZN2at6native12_GLOBAL__N_125multi_tensor_apply_kernelINS1_28TensorListScalarListMetadataIN3c107complexIdEELi2EEENS1_26TernaryOpScalarListFunctorIS6_Li2ELi2ELi0EEEJNS0_11LerpFunctorIS6_EEEEEvT_T0_DpT1_
; %bb.0:
	v_mov_b32_e32 v1, s2
	global_load_ubyte v1, v1, s[0:1] offset:2400
	s_add_u32 s4, s0, s2
	s_mul_hi_u32 s5, s2, 3
	s_mul_i32 s2, s2, 3
	s_addc_u32 s6, s1, 0
	s_add_u32 s4, s4, s2
	s_addc_u32 s5, s6, s5
	s_load_dword s4, s[4:5], 0xaa0
	s_mov_b32 s3, 0
	s_mov_b32 s9, s3
	s_waitcnt lgkmcnt(0)
	s_ashr_i32 s5, s4, 31
	s_waitcnt vmcnt(0)
	v_readfirstlane_b32 s2, v1
	s_lshl_b32 s2, s2, 3
	s_load_dwordx2 s[10:11], s[0:1], s2 offset:0x3c0
	s_load_dwordx2 s[6:7], s[0:1], s2 offset:0x0
	;; [unrolled: 1-line block ×3, first 2 shown]
	s_add_u32 s12, s0, s2
	s_addc_u32 s13, s1, 0
	s_lshl_b64 s[20:21], s[4:5], 20
	s_waitcnt lgkmcnt(0)
	s_add_u32 s16, s6, s20
	s_load_dwordx4 s[12:15], s[12:13], s2 offset:0x5a0
	s_addc_u32 s17, s7, s21
	s_and_b32 s2, s16, 63
	s_add_u32 s18, s18, s20
	s_addc_u32 s19, s19, s21
	s_lshl_b64 s[4:5], s[4:5], 16
	s_and_b32 s8, s18, 63
	s_sub_u32 s6, s10, s4
	s_subb_u32 s7, s11, s5
	s_and_b32 s4, s10, 3
	s_mov_b32 s5, s3
	s_or_b64 s[4:5], s[8:9], s[4:5]
	s_or_b64 s[2:3], s[4:5], s[2:3]
	s_cmp_eq_u64 s[2:3], 0
	s_mov_b64 s[2:3], -1
	s_cbranch_scc0 .LBB32_21
; %bb.1:
	v_mov_b64_e32 v[2:3], 0x10000
	v_cmp_lt_i64_e32 vcc, s[6:7], v[2:3]
	s_and_b64 s[2:3], vcc, exec
	v_mov_b32_e32 v39, 0
	s_cselect_b32 s9, s7, 0
	s_cselect_b32 s8, s6, 0x10000
	v_lshlrev_b32_e32 v38, 2, v0
	v_cmp_gt_i64_e32 vcc, s[8:9], v[38:39]
	s_and_saveexec_b64 s[10:11], vcc
	s_cbranch_execz .LBB32_20
; %bb.2:
	s_load_dword s4, s[0:1], 0xfb4
	s_waitcnt lgkmcnt(0)
	v_mul_f64 v[2:3], s[14:15], s[14:15]
	s_mov_b32 s2, 0
	v_mov_b32_e32 v1, v39
	v_fmac_f64_e64 v[2:3], s[12:13], s[12:13]
	s_mov_b32 s3, 0x3fd00000
	s_and_b32 s22, s4, 0xffff
	v_cmp_ngt_f64_e64 s[2:3], s[2:3], v[2:3]
	v_add_f64 v[40:41], -s[12:13], 1.0
	s_mov_b64 s[20:21], 0
	v_add_f64 v[42:43], -s[14:15], 0
	s_mov_b32 s23, 0
	v_lshlrev_b32_e32 v38, 6, v0
	s_lshl_b32 s30, s22, 6
	s_mov_b64 s[24:25], s[16:17]
	s_mov_b64 s[26:27], s[18:19]
	v_mov_b64_e32 v[44:45], v[0:1]
	s_branch .LBB32_4
.LBB32_3:                               ;   in Loop: Header=BB32_4 Depth=1
	s_add_u32 s26, s26, s30
	v_lshl_add_u64 v[44:45], v[44:45], 0, s[22:23]
	s_addc_u32 s27, s27, 0
	v_lshlrev_b64 v[2:3], 2, v[44:45]
	s_add_u32 s24, s24, s30
	s_addc_u32 s25, s25, 0
	v_cmp_le_i64_e32 vcc, s[8:9], v[2:3]
	s_or_b64 s[20:21], vcc, s[20:21]
	global_store_dwordx4 v[46:47], v[6:9], off
	global_store_dwordx4 v[46:47], v[18:21], off offset:16
	global_store_dwordx4 v[46:47], v[26:29], off offset:32
	;; [unrolled: 1-line block ×3, first 2 shown]
	s_andn2_b64 exec, exec, s[20:21]
	s_cbranch_execz .LBB32_20
.LBB32_4:                               ; =>This Inner Loop Header: Depth=1
	v_lshl_add_u64 v[46:47], s[24:25], 0, v[38:39]
	global_load_dwordx4 v[26:29], v[46:47], off offset:16
	global_load_dwordx4 v[18:21], v[46:47], off
	v_lshl_add_u64 v[6:7], s[26:27], 0, v[38:39]
	global_load_dwordx4 v[30:33], v[6:7], off offset:16
	global_load_dwordx4 v[34:37], v[6:7], off
	global_load_dwordx4 v[2:5], v[46:47], off offset:48
	global_load_dwordx4 v[14:17], v[46:47], off offset:32
	;; [unrolled: 1-line block ×4, first 2 shown]
	s_mov_b64 s[4:5], -1
	s_and_b64 vcc, exec, s[2:3]
                                        ; implicit-def: $vgpr8_vgpr9
	s_waitcnt vmcnt(4)
	v_add_f64 v[48:49], v[34:35], -v[18:19]
	v_add_f64 v[50:51], v[36:37], -v[20:21]
	s_cbranch_vccz .LBB32_6
; %bb.5:                                ;   in Loop: Header=BB32_4 Depth=1
	v_mul_f64 v[6:7], v[42:43], v[50:51]
	v_mul_f64 v[8:9], v[40:41], v[50:51]
	v_fma_f64 v[6:7], v[40:41], v[48:49], -v[6:7]
	v_fmac_f64_e32 v[8:9], v[42:43], v[48:49]
	v_add_f64 v[6:7], v[34:35], -v[6:7]
	v_add_f64 v[8:9], v[36:37], -v[8:9]
	s_mov_b64 s[4:5], 0
.LBB32_6:                               ;   in Loop: Header=BB32_4 Depth=1
	s_andn2_b64 vcc, exec, s[4:5]
	s_cbranch_vccnz .LBB32_8
; %bb.7:                                ;   in Loop: Header=BB32_4 Depth=1
	v_mul_f64 v[6:7], s[14:15], v[50:51]
	v_mul_f64 v[8:9], s[12:13], v[50:51]
	v_fma_f64 v[6:7], s[12:13], v[48:49], -v[6:7]
	v_fmac_f64_e32 v[8:9], s[14:15], v[48:49]
	v_add_f64 v[6:7], v[18:19], v[6:7]
	v_add_f64 v[8:9], v[20:21], v[8:9]
.LBB32_8:                               ;   in Loop: Header=BB32_4 Depth=1
	v_cndmask_b32_e64 v1, 0, 1, s[2:3]
	v_add_f64 v[34:35], v[30:31], -v[26:27]
	v_add_f64 v[36:37], v[32:33], -v[28:29]
	v_cmp_ne_u32_e64 s[4:5], 1, v1
	s_andn2_b64 vcc, exec, s[2:3]
	s_mov_b64 s[28:29], -1
                                        ; implicit-def: $vgpr20_vgpr21
	s_cbranch_vccnz .LBB32_10
; %bb.9:                                ;   in Loop: Header=BB32_4 Depth=1
	v_mul_f64 v[18:19], v[42:43], v[36:37]
	v_mul_f64 v[20:21], v[40:41], v[36:37]
	v_fma_f64 v[18:19], v[40:41], v[34:35], -v[18:19]
	v_fmac_f64_e32 v[20:21], v[42:43], v[34:35]
	v_add_f64 v[18:19], v[30:31], -v[18:19]
	v_add_f64 v[20:21], v[32:33], -v[20:21]
	s_mov_b64 s[28:29], 0
.LBB32_10:                              ;   in Loop: Header=BB32_4 Depth=1
	s_andn2_b64 vcc, exec, s[28:29]
	s_cbranch_vccnz .LBB32_12
; %bb.11:                               ;   in Loop: Header=BB32_4 Depth=1
	v_mul_f64 v[18:19], s[14:15], v[36:37]
	v_mul_f64 v[20:21], s[12:13], v[36:37]
	v_fma_f64 v[18:19], s[12:13], v[34:35], -v[18:19]
	v_fmac_f64_e32 v[20:21], s[14:15], v[34:35]
	v_add_f64 v[18:19], v[26:27], v[18:19]
	v_add_f64 v[20:21], v[28:29], v[20:21]
.LBB32_12:                              ;   in Loop: Header=BB32_4 Depth=1
	s_waitcnt vmcnt(0)
	v_add_f64 v[30:31], v[22:23], -v[14:15]
	v_add_f64 v[32:33], v[24:25], -v[16:17]
	s_and_b64 vcc, exec, s[4:5]
	s_mov_b64 s[28:29], -1
                                        ; implicit-def: $vgpr28_vgpr29
	s_cbranch_vccnz .LBB32_14
; %bb.13:                               ;   in Loop: Header=BB32_4 Depth=1
	v_mul_f64 v[26:27], v[42:43], v[32:33]
	v_mul_f64 v[28:29], v[40:41], v[32:33]
	v_fma_f64 v[26:27], v[40:41], v[30:31], -v[26:27]
	v_fmac_f64_e32 v[28:29], v[42:43], v[30:31]
	v_add_f64 v[26:27], v[22:23], -v[26:27]
	v_add_f64 v[28:29], v[24:25], -v[28:29]
	s_mov_b64 s[28:29], 0
.LBB32_14:                              ;   in Loop: Header=BB32_4 Depth=1
	s_andn2_b64 vcc, exec, s[28:29]
	s_cbranch_vccnz .LBB32_16
; %bb.15:                               ;   in Loop: Header=BB32_4 Depth=1
	v_mul_f64 v[22:23], s[14:15], v[32:33]
	v_mul_f64 v[24:25], s[12:13], v[32:33]
	v_fma_f64 v[22:23], s[12:13], v[30:31], -v[22:23]
	v_fmac_f64_e32 v[24:25], s[14:15], v[30:31]
	v_add_f64 v[26:27], v[14:15], v[22:23]
	v_add_f64 v[28:29], v[16:17], v[24:25]
.LBB32_16:                              ;   in Loop: Header=BB32_4 Depth=1
	v_add_f64 v[22:23], v[10:11], -v[2:3]
	v_add_f64 v[24:25], v[12:13], -v[4:5]
	s_and_b64 vcc, exec, s[4:5]
	s_mov_b64 s[4:5], -1
                                        ; implicit-def: $vgpr16_vgpr17
	s_cbranch_vccnz .LBB32_18
; %bb.17:                               ;   in Loop: Header=BB32_4 Depth=1
	v_mul_f64 v[14:15], v[42:43], v[24:25]
	v_mul_f64 v[16:17], v[40:41], v[24:25]
	v_fma_f64 v[14:15], v[40:41], v[22:23], -v[14:15]
	v_fmac_f64_e32 v[16:17], v[42:43], v[22:23]
	v_add_f64 v[14:15], v[10:11], -v[14:15]
	v_add_f64 v[16:17], v[12:13], -v[16:17]
	s_mov_b64 s[4:5], 0
.LBB32_18:                              ;   in Loop: Header=BB32_4 Depth=1
	s_andn2_b64 vcc, exec, s[4:5]
	s_cbranch_vccnz .LBB32_3
; %bb.19:                               ;   in Loop: Header=BB32_4 Depth=1
	v_mul_f64 v[10:11], s[14:15], v[24:25]
	v_mul_f64 v[12:13], s[12:13], v[24:25]
	v_fma_f64 v[10:11], s[12:13], v[22:23], -v[10:11]
	v_fmac_f64_e32 v[12:13], s[14:15], v[22:23]
	v_add_f64 v[14:15], v[2:3], v[10:11]
	v_add_f64 v[16:17], v[4:5], v[12:13]
	s_branch .LBB32_3
.LBB32_20:
	s_or_b64 exec, exec, s[10:11]
	s_mov_b64 s[2:3], 0
.LBB32_21:
	s_andn2_b64 vcc, exec, s[2:3]
	s_cbranch_vccnz .LBB32_57
; %bb.22:
	v_cmp_lt_i64_e64 s[2:3], s[6:7], 1
	s_and_b64 vcc, exec, s[2:3]
	s_cbranch_vccnz .LBB32_57
; %bb.23:
	s_load_dword s2, s[0:1], 0xfb4
	v_mov_b64_e32 v[2:3], 0x10000
	v_cmp_lt_i64_e32 vcc, s[6:7], v[2:3]
	s_and_b64 s[0:1], vcc, exec
	s_cselect_b32 s23, s7, 0
	s_cselect_b32 s22, s6, 0x10000
	s_waitcnt lgkmcnt(0)
	s_and_b32 s20, s2, 0xffff
	v_cmp_lt_u64_e32 vcc, s[6:7], v[2:3]
	s_and_b64 s[0:1], vcc, exec
	v_mul_f64 v[2:3], s[14:15], s[14:15]
	s_mov_b32 s0, 0
	s_mov_b32 s21, 0
	v_fmac_f64_e64 v[2:3], s[12:13], s[12:13]
	s_mov_b32 s1, 0x3fd00000
	v_mov_b32_e32 v1, 0
	s_cselect_b32 s25, s7, 0
	s_cselect_b32 s24, s6, 0x10000
	s_lshl_b32 s26, s20, 1
	s_mov_b32 s27, s21
	s_mul_i32 s28, s20, 3
	s_mov_b32 s29, s21
	v_cmp_ngt_f64_e64 s[0:1], s[0:1], v[2:3]
	v_add_f64 v[38:39], -s[12:13], 1.0
	s_mov_b64 s[30:31], 0
	v_add_f64 v[40:41], -s[14:15], 0
	s_lshl_b32 s33, s20, 2
	s_branch .LBB32_25
.LBB32_24:                              ;   in Loop: Header=BB32_25 Depth=1
	s_or_b64 exec, exec, s[2:3]
	s_add_u32 s30, s30, s33
	s_addc_u32 s31, s31, 0
	v_mov_b64_e32 v[2:3], s[22:23]
	v_cmp_ge_i64_e32 vcc, s[30:31], v[2:3]
	s_cbranch_vccnz .LBB32_57
.LBB32_25:                              ; =>This Inner Loop Header: Depth=1
	v_lshl_add_u64 v[42:43], s[30:31], 0, v[0:1]
	v_cmp_gt_u64_e64 s[2:3], s[24:25], v[42:43]
	v_mov_b64_e32 v[8:9], 0
	v_mov_b64_e32 v[36:37], 0
	;; [unrolled: 1-line block ×5, first 2 shown]
	s_and_saveexec_b64 s[4:5], s[2:3]
	s_cbranch_execz .LBB32_27
; %bb.26:                               ;   in Loop: Header=BB32_25 Depth=1
	v_lshlrev_b64 v[2:3], 4, v[42:43]
	v_lshl_add_u64 v[4:5], s[18:19], 0, v[2:3]
	v_lshl_add_u64 v[2:3], s[16:17], 0, v[2:3]
	global_load_dwordx4 v[22:25], v[2:3], off
	global_load_dwordx4 v[34:37], v[4:5], off
.LBB32_27:                              ;   in Loop: Header=BB32_25 Depth=1
	s_or_b64 exec, exec, s[4:5]
	v_lshl_add_u64 v[44:45], v[42:43], 0, s[20:21]
	v_cmp_gt_u64_e64 s[4:5], s[24:25], v[44:45]
	v_mov_b64_e32 v[6:7], 0
	v_mov_b64_e32 v[20:21], 0
	;; [unrolled: 1-line block ×3, first 2 shown]
	s_and_saveexec_b64 s[6:7], s[4:5]
	s_cbranch_execz .LBB32_29
; %bb.28:                               ;   in Loop: Header=BB32_25 Depth=1
	v_lshlrev_b64 v[2:3], 4, v[44:45]
	v_lshl_add_u64 v[4:5], s[18:19], 0, v[2:3]
	v_lshl_add_u64 v[2:3], s[16:17], 0, v[2:3]
	global_load_dwordx4 v[18:21], v[2:3], off
	global_load_dwordx4 v[6:9], v[4:5], off
.LBB32_29:                              ;   in Loop: Header=BB32_25 Depth=1
	s_or_b64 exec, exec, s[6:7]
	v_lshl_add_u64 v[46:47], v[42:43], 0, s[26:27]
	v_cmp_gt_u64_e64 s[6:7], s[24:25], v[46:47]
	v_mov_b64_e32 v[4:5], 0
	v_mov_b64_e32 v[32:33], 0
	;; [unrolled: 1-line block ×5, first 2 shown]
	s_and_saveexec_b64 s[8:9], s[6:7]
	s_cbranch_execz .LBB32_31
; %bb.30:                               ;   in Loop: Header=BB32_25 Depth=1
	v_lshlrev_b64 v[2:3], 4, v[46:47]
	v_lshl_add_u64 v[10:11], s[18:19], 0, v[2:3]
	v_lshl_add_u64 v[2:3], s[16:17], 0, v[2:3]
	global_load_dwordx4 v[14:17], v[2:3], off
	global_load_dwordx4 v[30:33], v[10:11], off
.LBB32_31:                              ;   in Loop: Header=BB32_25 Depth=1
	s_or_b64 exec, exec, s[8:9]
	v_lshl_add_u64 v[48:49], v[42:43], 0, s[28:29]
	v_cmp_gt_u64_e64 s[8:9], s[24:25], v[48:49]
	v_mov_b64_e32 v[2:3], 0
	v_mov_b64_e32 v[12:13], 0
	;; [unrolled: 1-line block ×3, first 2 shown]
	s_and_saveexec_b64 s[10:11], s[8:9]
	s_cbranch_execz .LBB32_33
; %bb.32:                               ;   in Loop: Header=BB32_25 Depth=1
	v_lshlrev_b64 v[2:3], 4, v[48:49]
	v_lshl_add_u64 v[28:29], s[16:17], 0, v[2:3]
	v_lshl_add_u64 v[26:27], s[18:19], 0, v[2:3]
	global_load_dwordx4 v[10:13], v[28:29], off
	global_load_dwordx4 v[2:5], v[26:27], off
.LBB32_33:                              ;   in Loop: Header=BB32_25 Depth=1
	s_or_b64 exec, exec, s[10:11]
	s_waitcnt vmcnt(0)
	v_add_f64 v[52:53], v[34:35], -v[22:23]
	v_add_f64 v[50:51], v[36:37], -v[24:25]
	s_mov_b64 s[10:11], -1
	s_and_b64 vcc, exec, s[0:1]
                                        ; implicit-def: $vgpr28_vgpr29
	s_cbranch_vccz .LBB32_35
; %bb.34:                               ;   in Loop: Header=BB32_25 Depth=1
	v_mul_f64 v[26:27], v[40:41], v[50:51]
	v_mul_f64 v[28:29], v[40:41], v[52:53]
	v_fma_f64 v[26:27], v[38:39], v[52:53], -v[26:27]
	v_fmac_f64_e32 v[28:29], v[38:39], v[50:51]
	v_add_f64 v[26:27], v[34:35], -v[26:27]
	v_add_f64 v[28:29], v[36:37], -v[28:29]
	s_mov_b64 s[10:11], 0
.LBB32_35:                              ;   in Loop: Header=BB32_25 Depth=1
	s_andn2_b64 vcc, exec, s[10:11]
	s_cbranch_vccnz .LBB32_37
; %bb.36:                               ;   in Loop: Header=BB32_25 Depth=1
	v_mul_f64 v[26:27], s[14:15], v[50:51]
	v_mul_f64 v[28:29], s[14:15], v[52:53]
	v_fma_f64 v[26:27], s[12:13], v[52:53], -v[26:27]
	v_fmac_f64_e32 v[28:29], s[12:13], v[50:51]
	v_add_f64 v[26:27], v[22:23], v[26:27]
	v_add_f64 v[28:29], v[24:25], v[28:29]
.LBB32_37:                              ;   in Loop: Header=BB32_25 Depth=1
	v_cndmask_b32_e64 v22, 0, 1, s[0:1]
	v_add_f64 v[36:37], v[6:7], -v[18:19]
	v_add_f64 v[34:35], v[8:9], -v[20:21]
	v_cmp_ne_u32_e64 s[10:11], 1, v22
	s_andn2_b64 vcc, exec, s[0:1]
	s_mov_b64 s[34:35], -1
                                        ; implicit-def: $vgpr24_vgpr25
	s_cbranch_vccnz .LBB32_39
; %bb.38:                               ;   in Loop: Header=BB32_25 Depth=1
	v_mul_f64 v[22:23], v[40:41], v[34:35]
	v_mul_f64 v[24:25], v[40:41], v[36:37]
	v_fma_f64 v[22:23], v[38:39], v[36:37], -v[22:23]
	v_fmac_f64_e32 v[24:25], v[38:39], v[34:35]
	v_add_f64 v[22:23], v[6:7], -v[22:23]
	v_add_f64 v[24:25], v[8:9], -v[24:25]
	s_mov_b64 s[34:35], 0
.LBB32_39:                              ;   in Loop: Header=BB32_25 Depth=1
	s_andn2_b64 vcc, exec, s[34:35]
	s_cbranch_vccnz .LBB32_41
; %bb.40:                               ;   in Loop: Header=BB32_25 Depth=1
	v_mul_f64 v[6:7], s[14:15], v[34:35]
	v_mul_f64 v[8:9], s[14:15], v[36:37]
	v_fma_f64 v[6:7], s[12:13], v[36:37], -v[6:7]
	v_fmac_f64_e32 v[8:9], s[12:13], v[34:35]
	v_add_f64 v[22:23], v[18:19], v[6:7]
	v_add_f64 v[24:25], v[20:21], v[8:9]
.LBB32_41:                              ;   in Loop: Header=BB32_25 Depth=1
	v_add_f64 v[20:21], v[30:31], -v[14:15]
	v_add_f64 v[18:19], v[32:33], -v[16:17]
	s_and_b64 vcc, exec, s[10:11]
	s_mov_b64 s[34:35], -1
                                        ; implicit-def: $vgpr8_vgpr9
	s_cbranch_vccnz .LBB32_43
; %bb.42:                               ;   in Loop: Header=BB32_25 Depth=1
	v_mul_f64 v[6:7], v[40:41], v[18:19]
	v_mul_f64 v[8:9], v[40:41], v[20:21]
	v_fma_f64 v[6:7], v[38:39], v[20:21], -v[6:7]
	v_fmac_f64_e32 v[8:9], v[38:39], v[18:19]
	v_add_f64 v[6:7], v[30:31], -v[6:7]
	v_add_f64 v[8:9], v[32:33], -v[8:9]
	s_mov_b64 s[34:35], 0
.LBB32_43:                              ;   in Loop: Header=BB32_25 Depth=1
	s_andn2_b64 vcc, exec, s[34:35]
	s_cbranch_vccnz .LBB32_45
; %bb.44:                               ;   in Loop: Header=BB32_25 Depth=1
	v_mul_f64 v[6:7], s[14:15], v[18:19]
	v_mul_f64 v[8:9], s[14:15], v[20:21]
	v_fma_f64 v[6:7], s[12:13], v[20:21], -v[6:7]
	v_fmac_f64_e32 v[8:9], s[12:13], v[18:19]
	v_add_f64 v[6:7], v[14:15], v[6:7]
	v_add_f64 v[8:9], v[16:17], v[8:9]
.LBB32_45:                              ;   in Loop: Header=BB32_25 Depth=1
	v_add_f64 v[20:21], v[2:3], -v[10:11]
	v_add_f64 v[18:19], v[4:5], -v[12:13]
	s_and_b64 vcc, exec, s[10:11]
	s_mov_b64 s[10:11], -1
                                        ; implicit-def: $vgpr16_vgpr17
	s_cbranch_vccz .LBB32_51
; %bb.46:                               ;   in Loop: Header=BB32_25 Depth=1
	s_andn2_b64 vcc, exec, s[10:11]
	s_cbranch_vccz .LBB32_52
.LBB32_47:                              ;   in Loop: Header=BB32_25 Depth=1
	s_and_saveexec_b64 s[10:11], s[2:3]
	s_xor_b64 s[2:3], exec, s[10:11]
	s_cbranch_execnz .LBB32_53
.LBB32_48:                              ;   in Loop: Header=BB32_25 Depth=1
	s_or_b64 exec, exec, s[2:3]
	s_and_saveexec_b64 s[2:3], s[4:5]
	s_cbranch_execnz .LBB32_54
.LBB32_49:                              ;   in Loop: Header=BB32_25 Depth=1
	s_or_b64 exec, exec, s[2:3]
	s_and_saveexec_b64 s[2:3], s[6:7]
	s_cbranch_execnz .LBB32_55
.LBB32_50:                              ;   in Loop: Header=BB32_25 Depth=1
	s_or_b64 exec, exec, s[2:3]
	s_and_saveexec_b64 s[2:3], s[8:9]
	s_cbranch_execz .LBB32_24
	s_branch .LBB32_56
.LBB32_51:                              ;   in Loop: Header=BB32_25 Depth=1
	v_mul_f64 v[14:15], v[40:41], v[18:19]
	v_mul_f64 v[16:17], v[40:41], v[20:21]
	v_fma_f64 v[14:15], v[38:39], v[20:21], -v[14:15]
	v_fmac_f64_e32 v[16:17], v[38:39], v[18:19]
	v_add_f64 v[14:15], v[2:3], -v[14:15]
	v_add_f64 v[16:17], v[4:5], -v[16:17]
	s_cbranch_execnz .LBB32_47
.LBB32_52:                              ;   in Loop: Header=BB32_25 Depth=1
	v_mul_f64 v[2:3], s[14:15], v[18:19]
	v_mul_f64 v[4:5], s[14:15], v[20:21]
	v_fma_f64 v[2:3], s[12:13], v[20:21], -v[2:3]
	v_fmac_f64_e32 v[4:5], s[12:13], v[18:19]
	v_add_f64 v[14:15], v[10:11], v[2:3]
	v_add_f64 v[16:17], v[12:13], v[4:5]
	s_and_saveexec_b64 s[10:11], s[2:3]
	s_xor_b64 s[2:3], exec, s[10:11]
	s_cbranch_execz .LBB32_48
.LBB32_53:                              ;   in Loop: Header=BB32_25 Depth=1
	v_lshl_add_u64 v[2:3], v[42:43], 4, s[16:17]
	global_store_dwordx4 v[2:3], v[26:29], off
	s_or_b64 exec, exec, s[2:3]
	s_and_saveexec_b64 s[2:3], s[4:5]
	s_cbranch_execz .LBB32_49
.LBB32_54:                              ;   in Loop: Header=BB32_25 Depth=1
	v_lshl_add_u64 v[2:3], v[44:45], 4, s[16:17]
	global_store_dwordx4 v[2:3], v[22:25], off
	s_or_b64 exec, exec, s[2:3]
	s_and_saveexec_b64 s[2:3], s[6:7]
	s_cbranch_execz .LBB32_50
.LBB32_55:                              ;   in Loop: Header=BB32_25 Depth=1
	v_lshl_add_u64 v[2:3], v[46:47], 4, s[16:17]
	global_store_dwordx4 v[2:3], v[6:9], off
	s_or_b64 exec, exec, s[2:3]
	s_and_saveexec_b64 s[2:3], s[8:9]
	s_cbranch_execz .LBB32_24
.LBB32_56:                              ;   in Loop: Header=BB32_25 Depth=1
	v_lshl_add_u64 v[2:3], v[48:49], 4, s[16:17]
	global_store_dwordx4 v[2:3], v[14:17], off
	s_branch .LBB32_24
.LBB32_57:
	s_endpgm
	.section	.rodata,"a",@progbits
	.p2align	6, 0x0
	.amdhsa_kernel _ZN2at6native12_GLOBAL__N_125multi_tensor_apply_kernelINS1_28TensorListScalarListMetadataIN3c107complexIdEELi2EEENS1_26TernaryOpScalarListFunctorIS6_Li2ELi2ELi0EEEJNS0_11LerpFunctorIS6_EEEEEvT_T0_DpT1_
		.amdhsa_group_segment_fixed_size 0
		.amdhsa_private_segment_fixed_size 0
		.amdhsa_kernarg_size 4264
		.amdhsa_user_sgpr_count 2
		.amdhsa_user_sgpr_dispatch_ptr 0
		.amdhsa_user_sgpr_queue_ptr 0
		.amdhsa_user_sgpr_kernarg_segment_ptr 1
		.amdhsa_user_sgpr_dispatch_id 0
		.amdhsa_user_sgpr_kernarg_preload_length 0
		.amdhsa_user_sgpr_kernarg_preload_offset 0
		.amdhsa_user_sgpr_private_segment_size 0
		.amdhsa_uses_dynamic_stack 0
		.amdhsa_enable_private_segment 0
		.amdhsa_system_sgpr_workgroup_id_x 1
		.amdhsa_system_sgpr_workgroup_id_y 0
		.amdhsa_system_sgpr_workgroup_id_z 0
		.amdhsa_system_sgpr_workgroup_info 0
		.amdhsa_system_vgpr_workitem_id 0
		.amdhsa_next_free_vgpr 54
		.amdhsa_next_free_sgpr 36
		.amdhsa_accum_offset 56
		.amdhsa_reserve_vcc 1
		.amdhsa_float_round_mode_32 0
		.amdhsa_float_round_mode_16_64 0
		.amdhsa_float_denorm_mode_32 3
		.amdhsa_float_denorm_mode_16_64 3
		.amdhsa_dx10_clamp 1
		.amdhsa_ieee_mode 1
		.amdhsa_fp16_overflow 0
		.amdhsa_tg_split 0
		.amdhsa_exception_fp_ieee_invalid_op 0
		.amdhsa_exception_fp_denorm_src 0
		.amdhsa_exception_fp_ieee_div_zero 0
		.amdhsa_exception_fp_ieee_overflow 0
		.amdhsa_exception_fp_ieee_underflow 0
		.amdhsa_exception_fp_ieee_inexact 0
		.amdhsa_exception_int_div_zero 0
	.end_amdhsa_kernel
	.section	.text._ZN2at6native12_GLOBAL__N_125multi_tensor_apply_kernelINS1_28TensorListScalarListMetadataIN3c107complexIdEELi2EEENS1_26TernaryOpScalarListFunctorIS6_Li2ELi2ELi0EEEJNS0_11LerpFunctorIS6_EEEEEvT_T0_DpT1_,"axG",@progbits,_ZN2at6native12_GLOBAL__N_125multi_tensor_apply_kernelINS1_28TensorListScalarListMetadataIN3c107complexIdEELi2EEENS1_26TernaryOpScalarListFunctorIS6_Li2ELi2ELi0EEEJNS0_11LerpFunctorIS6_EEEEEvT_T0_DpT1_,comdat
.Lfunc_end32:
	.size	_ZN2at6native12_GLOBAL__N_125multi_tensor_apply_kernelINS1_28TensorListScalarListMetadataIN3c107complexIdEELi2EEENS1_26TernaryOpScalarListFunctorIS6_Li2ELi2ELi0EEEJNS0_11LerpFunctorIS6_EEEEEvT_T0_DpT1_, .Lfunc_end32-_ZN2at6native12_GLOBAL__N_125multi_tensor_apply_kernelINS1_28TensorListScalarListMetadataIN3c107complexIdEELi2EEENS1_26TernaryOpScalarListFunctorIS6_Li2ELi2ELi0EEEJNS0_11LerpFunctorIS6_EEEEEvT_T0_DpT1_
                                        ; -- End function
	.set _ZN2at6native12_GLOBAL__N_125multi_tensor_apply_kernelINS1_28TensorListScalarListMetadataIN3c107complexIdEELi2EEENS1_26TernaryOpScalarListFunctorIS6_Li2ELi2ELi0EEEJNS0_11LerpFunctorIS6_EEEEEvT_T0_DpT1_.num_vgpr, 54
	.set _ZN2at6native12_GLOBAL__N_125multi_tensor_apply_kernelINS1_28TensorListScalarListMetadataIN3c107complexIdEELi2EEENS1_26TernaryOpScalarListFunctorIS6_Li2ELi2ELi0EEEJNS0_11LerpFunctorIS6_EEEEEvT_T0_DpT1_.num_agpr, 0
	.set _ZN2at6native12_GLOBAL__N_125multi_tensor_apply_kernelINS1_28TensorListScalarListMetadataIN3c107complexIdEELi2EEENS1_26TernaryOpScalarListFunctorIS6_Li2ELi2ELi0EEEJNS0_11LerpFunctorIS6_EEEEEvT_T0_DpT1_.numbered_sgpr, 36
	.set _ZN2at6native12_GLOBAL__N_125multi_tensor_apply_kernelINS1_28TensorListScalarListMetadataIN3c107complexIdEELi2EEENS1_26TernaryOpScalarListFunctorIS6_Li2ELi2ELi0EEEJNS0_11LerpFunctorIS6_EEEEEvT_T0_DpT1_.num_named_barrier, 0
	.set _ZN2at6native12_GLOBAL__N_125multi_tensor_apply_kernelINS1_28TensorListScalarListMetadataIN3c107complexIdEELi2EEENS1_26TernaryOpScalarListFunctorIS6_Li2ELi2ELi0EEEJNS0_11LerpFunctorIS6_EEEEEvT_T0_DpT1_.private_seg_size, 0
	.set _ZN2at6native12_GLOBAL__N_125multi_tensor_apply_kernelINS1_28TensorListScalarListMetadataIN3c107complexIdEELi2EEENS1_26TernaryOpScalarListFunctorIS6_Li2ELi2ELi0EEEJNS0_11LerpFunctorIS6_EEEEEvT_T0_DpT1_.uses_vcc, 1
	.set _ZN2at6native12_GLOBAL__N_125multi_tensor_apply_kernelINS1_28TensorListScalarListMetadataIN3c107complexIdEELi2EEENS1_26TernaryOpScalarListFunctorIS6_Li2ELi2ELi0EEEJNS0_11LerpFunctorIS6_EEEEEvT_T0_DpT1_.uses_flat_scratch, 0
	.set _ZN2at6native12_GLOBAL__N_125multi_tensor_apply_kernelINS1_28TensorListScalarListMetadataIN3c107complexIdEELi2EEENS1_26TernaryOpScalarListFunctorIS6_Li2ELi2ELi0EEEJNS0_11LerpFunctorIS6_EEEEEvT_T0_DpT1_.has_dyn_sized_stack, 0
	.set _ZN2at6native12_GLOBAL__N_125multi_tensor_apply_kernelINS1_28TensorListScalarListMetadataIN3c107complexIdEELi2EEENS1_26TernaryOpScalarListFunctorIS6_Li2ELi2ELi0EEEJNS0_11LerpFunctorIS6_EEEEEvT_T0_DpT1_.has_recursion, 0
	.set _ZN2at6native12_GLOBAL__N_125multi_tensor_apply_kernelINS1_28TensorListScalarListMetadataIN3c107complexIdEELi2EEENS1_26TernaryOpScalarListFunctorIS6_Li2ELi2ELi0EEEJNS0_11LerpFunctorIS6_EEEEEvT_T0_DpT1_.has_indirect_call, 0
	.section	.AMDGPU.csdata,"",@progbits
; Kernel info:
; codeLenInByte = 2292
; TotalNumSgprs: 42
; NumVgprs: 54
; NumAgprs: 0
; TotalNumVgprs: 54
; ScratchSize: 0
; MemoryBound: 1
; FloatMode: 240
; IeeeMode: 1
; LDSByteSize: 0 bytes/workgroup (compile time only)
; SGPRBlocks: 5
; VGPRBlocks: 6
; NumSGPRsForWavesPerEU: 42
; NumVGPRsForWavesPerEU: 54
; AccumOffset: 56
; Occupancy: 8
; WaveLimiterHint : 0
; COMPUTE_PGM_RSRC2:SCRATCH_EN: 0
; COMPUTE_PGM_RSRC2:USER_SGPR: 2
; COMPUTE_PGM_RSRC2:TRAP_HANDLER: 0
; COMPUTE_PGM_RSRC2:TGID_X_EN: 1
; COMPUTE_PGM_RSRC2:TGID_Y_EN: 0
; COMPUTE_PGM_RSRC2:TGID_Z_EN: 0
; COMPUTE_PGM_RSRC2:TIDIG_COMP_CNT: 0
; COMPUTE_PGM_RSRC3_GFX90A:ACCUM_OFFSET: 13
; COMPUTE_PGM_RSRC3_GFX90A:TG_SPLIT: 0
	.section	.text._ZN2at6native12_GLOBAL__N_125multi_tensor_apply_kernelINS1_28TensorListScalarListMetadataIN3c107complexIfEELi2EEENS1_26TernaryOpScalarListFunctorIS6_Li2ELi2ELi0EEEJNS0_11LerpFunctorIS6_EEEEEvT_T0_DpT1_,"axG",@progbits,_ZN2at6native12_GLOBAL__N_125multi_tensor_apply_kernelINS1_28TensorListScalarListMetadataIN3c107complexIfEELi2EEENS1_26TernaryOpScalarListFunctorIS6_Li2ELi2ELi0EEEJNS0_11LerpFunctorIS6_EEEEEvT_T0_DpT1_,comdat
	.globl	_ZN2at6native12_GLOBAL__N_125multi_tensor_apply_kernelINS1_28TensorListScalarListMetadataIN3c107complexIfEELi2EEENS1_26TernaryOpScalarListFunctorIS6_Li2ELi2ELi0EEEJNS0_11LerpFunctorIS6_EEEEEvT_T0_DpT1_ ; -- Begin function _ZN2at6native12_GLOBAL__N_125multi_tensor_apply_kernelINS1_28TensorListScalarListMetadataIN3c107complexIfEELi2EEENS1_26TernaryOpScalarListFunctorIS6_Li2ELi2ELi0EEEJNS0_11LerpFunctorIS6_EEEEEvT_T0_DpT1_
	.p2align	8
	.type	_ZN2at6native12_GLOBAL__N_125multi_tensor_apply_kernelINS1_28TensorListScalarListMetadataIN3c107complexIfEELi2EEENS1_26TernaryOpScalarListFunctorIS6_Li2ELi2ELi0EEEJNS0_11LerpFunctorIS6_EEEEEvT_T0_DpT1_,@function
_ZN2at6native12_GLOBAL__N_125multi_tensor_apply_kernelINS1_28TensorListScalarListMetadataIN3c107complexIfEELi2EEENS1_26TernaryOpScalarListFunctorIS6_Li2ELi2ELi0EEEJNS0_11LerpFunctorIS6_EEEEEvT_T0_DpT1_: ; @_ZN2at6native12_GLOBAL__N_125multi_tensor_apply_kernelINS1_28TensorListScalarListMetadataIN3c107complexIfEELi2EEENS1_26TernaryOpScalarListFunctorIS6_Li2ELi2ELi0EEEJNS0_11LerpFunctorIS6_EEEEEvT_T0_DpT1_
; %bb.0:
	v_mov_b32_e32 v1, s2
	global_load_ubyte v1, v1, s[0:1] offset:2048
	s_add_u32 s4, s0, s2
	s_mul_hi_u32 s7, s2, 3
	s_mul_i32 s2, s2, 3
	s_addc_u32 s8, s1, 0
	s_add_u32 s6, s4, s2
	s_addc_u32 s7, s8, s7
	s_load_dword s10, s[6:7], 0x940
	s_mov_b32 s3, 0
	s_mov_b32 s5, s3
	s_waitcnt lgkmcnt(0)
	s_ashr_i32 s11, s10, 31
	s_lshl_b64 s[14:15], s[10:11], 19
	s_lshl_b64 s[10:11], s[10:11], 16
	s_waitcnt vmcnt(0)
	v_readfirstlane_b32 s2, v1
	s_lshl_b32 s2, s2, 3
	s_load_dwordx2 s[16:17], s[0:1], s2 offset:0x400
	s_load_dwordx2 s[6:7], s[0:1], s2 offset:0x0
	;; [unrolled: 1-line block ×4, first 2 shown]
	s_waitcnt lgkmcnt(0)
	s_add_u32 s2, s6, s14
	s_and_b32 s2, s2, 31
	s_and_b32 s4, s8, 31
	s_sub_u32 s10, s16, s10
	s_subb_u32 s11, s17, s11
	s_and_b32 s16, s16, 3
	s_mov_b32 s17, s3
	s_or_b64 s[4:5], s[4:5], s[16:17]
	s_or_b64 s[2:3], s[4:5], s[2:3]
	s_cmp_eq_u64 s[2:3], 0
	s_mov_b64 s[2:3], -1
	s_cbranch_scc0 .LBB33_21
; %bb.1:
	v_mov_b64_e32 v[4:5], 0x10000
	v_cmp_lt_i64_e32 vcc, s[10:11], v[4:5]
	s_and_b64 s[2:3], vcc, exec
	v_mov_b32_e32 v3, 0
	s_cselect_b32 s17, s11, 0
	s_cselect_b32 s16, s10, 0x10000
	v_lshlrev_b32_e32 v2, 2, v0
	v_cmp_gt_i64_e32 vcc, s[16:17], v[2:3]
	s_and_saveexec_b64 s[18:19], vcc
	s_cbranch_execz .LBB33_20
; %bb.2:
	s_load_dword s2, s[0:1], 0xe54
	v_pk_mul_f32 v[4:5], s[12:13], s[12:13]
	s_mov_b32 s3, 0x3e800000
	v_add_f32_e32 v4, v4, v5
	v_mov_b32_e32 v2, 1.0
	v_pk_add_f32 v[22:23], s[12:13], v[2:3] neg_lo:[1,0] neg_hi:[1,0]
	s_waitcnt lgkmcnt(0)
	s_and_b32 s20, s2, 0xffff
	v_lshlrev_b32_e32 v2, 5, v0
	v_cmp_ngt_f32_e64 s[2:3], s3, v4
	v_mov_b32_e32 v1, v3
	s_mov_b32 s21, 0
	v_lshl_add_u64 v[26:27], s[14:15], 0, v[2:3]
	v_cndmask_b32_e64 v2, 0, 1, s[2:3]
	v_mov_b32_e32 v24, v23
	v_mov_b32_e32 v25, v22
	s_mov_b32 s22, s13
	s_mov_b32 s23, s12
	s_lshl_b32 s24, s20, 5
	s_mov_b32 s25, s21
	s_mov_b64 s[26:27], 0
	v_cmp_ne_u32_e64 s[4:5], 1, v2
	v_mov_b64_e32 v[28:29], v[0:1]
	s_branch .LBB33_4
.LBB33_3:                               ;   in Loop: Header=BB33_4 Depth=1
	v_lshl_add_u64 v[28:29], v[28:29], 0, s[20:21]
	v_lshlrev_b64 v[2:3], 2, v[28:29]
	v_cmp_le_i64_e32 vcc, s[16:17], v[2:3]
	s_or_b64 s[26:27], vcc, s[26:27]
	v_lshl_add_u64 v[26:27], v[26:27], 0, s[24:25]
	global_store_dwordx4 v[30:31], v[6:9], off
	global_store_dwordx4 v[30:31], v[14:17], off offset:16
	s_andn2_b64 exec, exec, s[26:27]
	s_cbranch_execz .LBB33_20
.LBB33_4:                               ; =>This Inner Loop Header: Depth=1
	v_lshl_add_u64 v[6:7], s[8:9], 0, v[26:27]
	v_lshl_add_u64 v[30:31], s[6:7], 0, v[26:27]
	global_load_dwordx4 v[18:21], v[6:7], off
	global_load_dwordx4 v[14:17], v[30:31], off
	global_load_dwordx4 v[2:5], v[30:31], off offset:16
	global_load_dwordx4 v[10:13], v[6:7], off offset:16
	s_mov_b64 s[28:29], -1
	s_and_b64 vcc, exec, s[2:3]
                                        ; implicit-def: $vgpr6_vgpr7
	s_waitcnt vmcnt(2)
	v_pk_add_f32 v[8:9], v[18:19], v[14:15] neg_lo:[0,1] neg_hi:[0,1]
	s_cbranch_vccz .LBB33_8
; %bb.5:                                ;   in Loop: Header=BB33_4 Depth=1
	v_pk_mul_f32 v[6:7], v[24:25], v[8:9] op_sel:[0,1]
	s_nop 0
	v_pk_fma_f32 v[32:33], v[22:23], v[8:9], v[6:7] neg_lo:[0,0,1] neg_hi:[0,0,1]
	v_pk_fma_f32 v[6:7], v[22:23], v[8:9], v[6:7] op_sel_hi:[1,0,1]
	s_nop 0
	v_mov_b32_e32 v33, v7
	v_pk_add_f32 v[6:7], v[18:19], v[32:33] neg_lo:[0,1] neg_hi:[0,1]
	s_cbranch_execz .LBB33_9
.LBB33_6:                               ;   in Loop: Header=BB33_4 Depth=1
	v_pk_add_f32 v[14:15], v[20:21], v[16:17] neg_lo:[0,1] neg_hi:[0,1]
	s_and_b64 vcc, exec, s[4:5]
	s_mov_b64 s[28:29], -1
	s_cbranch_vccnz .LBB33_10
.LBB33_7:                               ;   in Loop: Header=BB33_4 Depth=1
	v_pk_mul_f32 v[8:9], v[24:25], v[14:15] op_sel:[0,1]
	s_nop 0
	v_pk_fma_f32 v[18:19], v[22:23], v[14:15], v[8:9] neg_lo:[0,0,1] neg_hi:[0,0,1]
	v_pk_fma_f32 v[8:9], v[22:23], v[14:15], v[8:9] op_sel_hi:[1,0,1]
	s_nop 0
	v_mov_b32_e32 v19, v9
	v_pk_add_f32 v[8:9], v[20:21], v[18:19] neg_lo:[0,1] neg_hi:[0,1]
	s_cbranch_execnz .LBB33_12
	s_branch .LBB33_11
.LBB33_8:                               ;   in Loop: Header=BB33_4 Depth=1
	s_andn2_b64 vcc, exec, s[28:29]
	s_cbranch_vccnz .LBB33_6
.LBB33_9:                               ;   in Loop: Header=BB33_4 Depth=1
	v_pk_mul_f32 v[6:7], v[8:9], s[22:23] op_sel:[1,0]
	s_nop 0
	v_pk_fma_f32 v[18:19], v[8:9], s[12:13], v[6:7] neg_lo:[0,0,1] neg_hi:[0,0,1]
	v_pk_fma_f32 v[6:7], v[8:9], s[12:13], v[6:7] op_sel_hi:[0,1,1]
	v_mov_b32_e32 v19, v7
	v_pk_add_f32 v[6:7], v[14:15], v[18:19]
	v_pk_add_f32 v[14:15], v[20:21], v[16:17] neg_lo:[0,1] neg_hi:[0,1]
	s_and_b64 vcc, exec, s[4:5]
	s_mov_b64 s[28:29], -1
	s_cbranch_vccz .LBB33_7
.LBB33_10:                              ;   in Loop: Header=BB33_4 Depth=1
	s_andn2_b64 vcc, exec, s[28:29]
	s_cbranch_vccnz .LBB33_12
.LBB33_11:                              ;   in Loop: Header=BB33_4 Depth=1
	v_pk_mul_f32 v[8:9], v[14:15], s[22:23] op_sel:[1,0]
	s_nop 0
	v_pk_fma_f32 v[18:19], v[14:15], s[12:13], v[8:9] neg_lo:[0,0,1] neg_hi:[0,0,1]
	v_pk_fma_f32 v[8:9], v[14:15], s[12:13], v[8:9] op_sel_hi:[0,1,1]
	v_mov_b32_e32 v19, v9
	v_pk_add_f32 v[8:9], v[16:17], v[18:19]
.LBB33_12:                              ;   in Loop: Header=BB33_4 Depth=1
	s_waitcnt vmcnt(0)
	v_pk_add_f32 v[16:17], v[10:11], v[2:3] neg_lo:[0,1] neg_hi:[0,1]
	s_and_b64 vcc, exec, s[4:5]
	s_mov_b64 s[28:29], -1
                                        ; implicit-def: $vgpr14_vgpr15
	s_cbranch_vccnz .LBB33_16
; %bb.13:                               ;   in Loop: Header=BB33_4 Depth=1
	v_pk_mul_f32 v[14:15], v[24:25], v[16:17] op_sel:[0,1]
	s_nop 0
	v_pk_fma_f32 v[18:19], v[22:23], v[16:17], v[14:15] neg_lo:[0,0,1] neg_hi:[0,0,1]
	v_pk_fma_f32 v[14:15], v[22:23], v[16:17], v[14:15] op_sel_hi:[1,0,1]
	s_nop 0
	v_mov_b32_e32 v19, v15
	v_pk_add_f32 v[14:15], v[10:11], v[18:19] neg_lo:[0,1] neg_hi:[0,1]
	s_cbranch_execz .LBB33_17
.LBB33_14:                              ;   in Loop: Header=BB33_4 Depth=1
	v_pk_add_f32 v[2:3], v[12:13], v[4:5] neg_lo:[0,1] neg_hi:[0,1]
	s_and_b64 vcc, exec, s[4:5]
	s_mov_b64 s[28:29], -1
	s_cbranch_vccnz .LBB33_18
.LBB33_15:                              ;   in Loop: Header=BB33_4 Depth=1
	v_pk_mul_f32 v[10:11], v[24:25], v[2:3] op_sel:[0,1]
	s_nop 0
	v_pk_fma_f32 v[16:17], v[22:23], v[2:3], v[10:11] neg_lo:[0,0,1] neg_hi:[0,0,1]
	v_pk_fma_f32 v[10:11], v[22:23], v[2:3], v[10:11] op_sel_hi:[1,0,1]
	s_nop 0
	v_mov_b32_e32 v17, v11
	v_pk_add_f32 v[16:17], v[12:13], v[16:17] neg_lo:[0,1] neg_hi:[0,1]
	s_cbranch_execnz .LBB33_3
	s_branch .LBB33_19
.LBB33_16:                              ;   in Loop: Header=BB33_4 Depth=1
	s_andn2_b64 vcc, exec, s[28:29]
	s_cbranch_vccnz .LBB33_14
.LBB33_17:                              ;   in Loop: Header=BB33_4 Depth=1
	v_pk_mul_f32 v[10:11], v[16:17], s[22:23] op_sel:[1,0]
	s_nop 0
	v_pk_fma_f32 v[14:15], v[16:17], s[12:13], v[10:11] neg_lo:[0,0,1] neg_hi:[0,0,1]
	v_pk_fma_f32 v[10:11], v[16:17], s[12:13], v[10:11] op_sel_hi:[0,1,1]
	v_mov_b32_e32 v15, v11
	v_pk_add_f32 v[14:15], v[2:3], v[14:15]
	v_pk_add_f32 v[2:3], v[12:13], v[4:5] neg_lo:[0,1] neg_hi:[0,1]
	s_and_b64 vcc, exec, s[4:5]
	s_mov_b64 s[28:29], -1
	s_cbranch_vccz .LBB33_15
.LBB33_18:                              ;   in Loop: Header=BB33_4 Depth=1
	s_andn2_b64 vcc, exec, s[28:29]
	s_cbranch_vccnz .LBB33_3
.LBB33_19:                              ;   in Loop: Header=BB33_4 Depth=1
	v_pk_mul_f32 v[10:11], v[2:3], s[22:23] op_sel:[1,0]
	s_nop 0
	v_pk_fma_f32 v[12:13], v[2:3], s[12:13], v[10:11] neg_lo:[0,0,1] neg_hi:[0,0,1]
	v_pk_fma_f32 v[2:3], v[2:3], s[12:13], v[10:11] op_sel_hi:[0,1,1]
	v_mov_b32_e32 v13, v3
	v_pk_add_f32 v[16:17], v[4:5], v[12:13]
	s_branch .LBB33_3
.LBB33_20:
	s_or_b64 exec, exec, s[18:19]
	s_mov_b64 s[2:3], 0
.LBB33_21:
	s_andn2_b64 vcc, exec, s[2:3]
	s_cbranch_vccnz .LBB33_57
; %bb.22:
	v_cmp_lt_i64_e64 s[2:3], s[10:11], 1
	s_and_b64 vcc, exec, s[2:3]
	s_cbranch_vccnz .LBB33_57
; %bb.23:
	s_load_dword s2, s[0:1], 0xe54
	v_mov_b64_e32 v[2:3], 0x10000
	v_cmp_lt_i64_e32 vcc, s[10:11], v[2:3]
	s_and_b64 s[0:1], vcc, exec
	s_cselect_b32 s17, s11, 0
	s_cselect_b32 s16, s10, 0x10000
	s_waitcnt lgkmcnt(0)
	s_and_b32 s2, s2, 0xffff
	v_cmp_lt_u64_e32 vcc, s[10:11], v[2:3]
	s_mov_b32 s3, 0
	s_and_b64 s[0:1], vcc, exec
	v_mov_b32_e32 v1, 0
	s_cselect_b32 s19, s11, 0
	s_cselect_b32 s18, s10, 0x10000
	s_mul_i32 s10, s2, 3
	s_mov_b32 s11, s3
	v_pk_mul_f32 v[2:3], s[12:13], s[12:13]
	s_mov_b32 s0, 0x3e800000
	v_add_f32_e32 v2, v2, v3
	v_lshlrev_b32_e32 v16, 3, v0
	v_mov_b32_e32 v17, v1
	v_lshl_add_u64 v[14:15], s[10:11], 0, v[0:1]
	s_lshl_b32 s10, s2, 4
	v_lshl_add_u64 v[22:23], v[0:1], 0, s[2:3]
	s_lshl_b32 s4, s2, 1
	s_mov_b32 s5, s3
	v_cmp_ngt_f32_e64 s[0:1], s0, v2
	v_sub_f32_e64 v2, 1.0, s12
	v_sub_f32_e64 v4, 0, s13
	v_mad_u64_u32 v[12:13], s[24:25], s2, 24, v[16:17]
	v_lshl_add_u64 v[18:19], s[10:11], 0, v[16:17]
	v_lshlrev_b32_e32 v26, 3, v22
	v_mov_b32_e32 v27, v1
	s_lshl_b32 s28, s2, 2
	s_mov_b32 s20, s12
	s_mov_b32 s21, s12
	;; [unrolled: 1-line block ×3, first 2 shown]
	v_mov_b32_e32 v3, v2
	v_mov_b32_e32 v5, v4
	v_lshl_add_u64 v[6:7], s[8:9], 0, v[16:17]
	s_lshl_b32 s22, s2, 5
	s_mov_b32 s23, s3
	v_lshl_add_u64 v[8:9], s[6:7], 0, v[16:17]
	v_lshl_add_u64 v[10:11], s[8:9], 0, v[12:13]
	;; [unrolled: 1-line block ×8, first 2 shown]
	s_mov_b64 s[24:25], 0
	s_branch .LBB33_25
.LBB33_24:                              ;   in Loop: Header=BB33_25 Depth=1
	s_or_b64 exec, exec, s[2:3]
	s_add_u32 s24, s24, s28
	s_addc_u32 s25, s25, 0
	v_mov_b64_e32 v[28:29], s[16:17]
	v_cmp_ge_i64_e32 vcc, s[24:25], v[28:29]
	v_lshl_add_u64 v[6:7], v[6:7], 0, s[22:23]
	v_lshl_add_u64 v[8:9], v[8:9], 0, s[22:23]
	;; [unrolled: 1-line block ×8, first 2 shown]
	s_cbranch_vccnz .LBB33_57
.LBB33_25:                              ; =>This Inner Loop Header: Depth=1
	v_lshl_add_u64 v[28:29], v[0:1], 0, s[24:25]
	v_cmp_gt_u64_e64 s[2:3], s[18:19], v[28:29]
	v_mov_b32_e32 v36, 0
	v_mov_b32_e32 v37, 0
	;; [unrolled: 1-line block ×4, first 2 shown]
	s_and_saveexec_b64 s[4:5], s[2:3]
	s_cbranch_execz .LBB33_27
; %bb.26:                               ;   in Loop: Header=BB33_25 Depth=1
	v_lshl_add_u64 v[30:31], v[8:9], 0, s[14:15]
	v_lshl_add_u64 v[28:29], v[6:7], 0, s[14:15]
	global_load_dwordx2 v[36:37], v[30:31], off
	global_load_dwordx2 v[44:45], v[28:29], off
.LBB33_27:                              ;   in Loop: Header=BB33_25 Depth=1
	s_or_b64 exec, exec, s[4:5]
	v_lshl_add_u64 v[28:29], v[22:23], 0, s[24:25]
	v_cmp_gt_u64_e64 s[4:5], s[18:19], v[28:29]
	v_mov_b32_e32 v28, 0
	v_mov_b32_e32 v32, 0
	;; [unrolled: 1-line block ×5, first 2 shown]
	s_and_saveexec_b64 s[6:7], s[4:5]
	s_cbranch_execz .LBB33_29
; %bb.28:                               ;   in Loop: Header=BB33_25 Depth=1
	v_lshl_add_u64 v[34:35], v[26:27], 0, s[14:15]
	v_lshl_add_u64 v[30:31], v[24:25], 0, s[14:15]
	global_load_dwordx2 v[32:33], v[34:35], off
	global_load_dwordx2 v[42:43], v[30:31], off
.LBB33_29:                              ;   in Loop: Header=BB33_25 Depth=1
	s_or_b64 exec, exec, s[6:7]
	v_lshl_add_u64 v[30:31], v[20:21], 0, s[24:25]
	v_cmp_gt_u64_e64 s[6:7], s[18:19], v[30:31]
	v_mov_b32_e32 v29, 0
	v_mov_b32_e32 v38, 0
	;; [unrolled: 1-line block ×3, first 2 shown]
	s_and_saveexec_b64 s[8:9], s[6:7]
	s_cbranch_execz .LBB33_31
; %bb.30:                               ;   in Loop: Header=BB33_25 Depth=1
	v_lshl_add_u64 v[34:35], v[18:19], 0, s[14:15]
	v_lshl_add_u64 v[30:31], v[16:17], 0, s[14:15]
	global_load_dwordx2 v[28:29], v[34:35], off
	global_load_dwordx2 v[38:39], v[30:31], off
.LBB33_31:                              ;   in Loop: Header=BB33_25 Depth=1
	s_or_b64 exec, exec, s[8:9]
	v_lshl_add_u64 v[30:31], v[14:15], 0, s[24:25]
	v_cmp_gt_u64_e64 s[8:9], s[18:19], v[30:31]
	v_mov_b32_e32 v30, 0
	v_mov_b32_e32 v31, v30
	;; [unrolled: 1-line block ×4, first 2 shown]
	s_and_saveexec_b64 s[10:11], s[8:9]
	s_cbranch_execz .LBB33_33
; %bb.32:                               ;   in Loop: Header=BB33_25 Depth=1
	v_lshl_add_u64 v[46:47], v[12:13], 0, s[14:15]
	v_lshl_add_u64 v[40:41], v[10:11], 0, s[14:15]
	global_load_dwordx2 v[30:31], v[46:47], off
	global_load_dwordx2 v[34:35], v[40:41], off
.LBB33_33:                              ;   in Loop: Header=BB33_25 Depth=1
	s_or_b64 exec, exec, s[10:11]
	s_waitcnt vmcnt(0)
	v_pk_add_f32 v[46:47], v[44:45], v[36:37] neg_lo:[0,1] neg_hi:[0,1]
	s_mov_b64 s[10:11], -1
	s_and_b64 vcc, exec, s[0:1]
                                        ; implicit-def: $vgpr40_vgpr41
	s_cbranch_vccz .LBB33_35
; %bb.34:                               ;   in Loop: Header=BB33_25 Depth=1
	v_pk_mul_f32 v[40:41], v[4:5], v[46:47] op_sel:[0,1] op_sel_hi:[1,0]
	s_mov_b64 s[10:11], 0
	v_pk_fma_f32 v[48:49], v[2:3], v[46:47], v[40:41] neg_lo:[0,0,1] neg_hi:[0,0,1]
	v_pk_fma_f32 v[40:41], v[2:3], v[46:47], v[40:41]
	s_nop 0
	v_mov_b32_e32 v49, v41
	v_pk_add_f32 v[40:41], v[44:45], v[48:49] neg_lo:[0,1] neg_hi:[0,1]
.LBB33_35:                              ;   in Loop: Header=BB33_25 Depth=1
	s_andn2_b64 vcc, exec, s[10:11]
	s_cbranch_vccnz .LBB33_37
; %bb.36:                               ;   in Loop: Header=BB33_25 Depth=1
	v_pk_mul_f32 v[40:41], v[46:47], s[12:13] op_sel:[1,0] op_sel_hi:[0,1]
	v_pk_fma_f32 v[44:45], v[46:47], s[20:21], v[40:41] neg_lo:[0,0,1] neg_hi:[0,0,1]
	v_pk_fma_f32 v[40:41], v[46:47], s[20:21], v[40:41]
	s_nop 0
	v_mov_b32_e32 v45, v41
	v_pk_add_f32 v[40:41], v[36:37], v[44:45]
.LBB33_37:                              ;   in Loop: Header=BB33_25 Depth=1
	v_cndmask_b32_e64 v36, 0, 1, s[0:1]
	v_pk_add_f32 v[44:45], v[42:43], v[32:33] neg_lo:[0,1] neg_hi:[0,1]
	v_cmp_ne_u32_e64 s[10:11], 1, v36
	s_andn2_b64 vcc, exec, s[0:1]
	s_mov_b64 s[26:27], -1
                                        ; implicit-def: $vgpr36_vgpr37
	s_cbranch_vccnz .LBB33_39
; %bb.38:                               ;   in Loop: Header=BB33_25 Depth=1
	v_pk_mul_f32 v[36:37], v[4:5], v[44:45] op_sel:[0,1] op_sel_hi:[1,0]
	s_nop 0
	v_pk_fma_f32 v[46:47], v[2:3], v[44:45], v[36:37] neg_lo:[0,0,1] neg_hi:[0,0,1]
	v_pk_fma_f32 v[36:37], v[2:3], v[44:45], v[36:37]
	s_nop 0
	v_mov_b32_e32 v47, v37
	v_pk_add_f32 v[36:37], v[42:43], v[46:47] neg_lo:[0,1] neg_hi:[0,1]
	s_cbranch_execnz .LBB33_41
	s_branch .LBB33_40
.LBB33_39:                              ;   in Loop: Header=BB33_25 Depth=1
	s_andn2_b64 vcc, exec, s[26:27]
	s_cbranch_vccnz .LBB33_41
.LBB33_40:                              ;   in Loop: Header=BB33_25 Depth=1
	v_pk_mul_f32 v[36:37], v[44:45], s[12:13] op_sel:[1,0] op_sel_hi:[0,1]
	v_pk_fma_f32 v[42:43], v[44:45], s[20:21], v[36:37] neg_lo:[0,0,1] neg_hi:[0,0,1]
	v_pk_fma_f32 v[36:37], v[44:45], s[20:21], v[36:37]
	s_nop 0
	v_mov_b32_e32 v43, v37
	v_pk_add_f32 v[36:37], v[32:33], v[42:43]
.LBB33_41:                              ;   in Loop: Header=BB33_25 Depth=1
	v_pk_add_f32 v[42:43], v[38:39], v[28:29] neg_lo:[0,1] neg_hi:[0,1]
	s_and_b64 vcc, exec, s[10:11]
	s_mov_b64 s[26:27], -1
                                        ; implicit-def: $vgpr32_vgpr33
	s_cbranch_vccnz .LBB33_43
; %bb.42:                               ;   in Loop: Header=BB33_25 Depth=1
	v_pk_mul_f32 v[32:33], v[4:5], v[42:43] op_sel:[0,1] op_sel_hi:[1,0]
	s_nop 0
	v_pk_fma_f32 v[44:45], v[2:3], v[42:43], v[32:33] neg_lo:[0,0,1] neg_hi:[0,0,1]
	v_pk_fma_f32 v[32:33], v[2:3], v[42:43], v[32:33]
	s_nop 0
	v_mov_b32_e32 v45, v33
	v_pk_add_f32 v[32:33], v[38:39], v[44:45] neg_lo:[0,1] neg_hi:[0,1]
	s_cbranch_execnz .LBB33_45
	s_branch .LBB33_44
.LBB33_43:                              ;   in Loop: Header=BB33_25 Depth=1
	s_andn2_b64 vcc, exec, s[26:27]
	s_cbranch_vccnz .LBB33_45
.LBB33_44:                              ;   in Loop: Header=BB33_25 Depth=1
	v_pk_mul_f32 v[32:33], v[42:43], s[12:13] op_sel:[1,0] op_sel_hi:[0,1]
	v_pk_fma_f32 v[38:39], v[42:43], s[20:21], v[32:33] neg_lo:[0,0,1] neg_hi:[0,0,1]
	v_pk_fma_f32 v[32:33], v[42:43], s[20:21], v[32:33]
	s_nop 0
	v_mov_b32_e32 v39, v33
	v_pk_add_f32 v[32:33], v[28:29], v[38:39]
.LBB33_45:                              ;   in Loop: Header=BB33_25 Depth=1
	v_pk_add_f32 v[38:39], v[34:35], v[30:31] neg_lo:[0,1] neg_hi:[0,1]
	s_and_b64 vcc, exec, s[10:11]
	s_mov_b64 s[10:11], -1
                                        ; implicit-def: $vgpr28_vgpr29
	s_cbranch_vccnz .LBB33_51
; %bb.46:                               ;   in Loop: Header=BB33_25 Depth=1
	v_pk_mul_f32 v[28:29], v[4:5], v[38:39] op_sel:[0,1] op_sel_hi:[1,0]
	s_nop 0
	v_pk_fma_f32 v[42:43], v[2:3], v[38:39], v[28:29] neg_lo:[0,0,1] neg_hi:[0,0,1]
	v_pk_fma_f32 v[28:29], v[2:3], v[38:39], v[28:29]
	s_nop 0
	v_mov_b32_e32 v43, v29
	v_pk_add_f32 v[28:29], v[34:35], v[42:43] neg_lo:[0,1] neg_hi:[0,1]
	s_cbranch_execz .LBB33_52
.LBB33_47:                              ;   in Loop: Header=BB33_25 Depth=1
	s_and_saveexec_b64 s[10:11], s[2:3]
	s_xor_b64 s[2:3], exec, s[10:11]
	s_cbranch_execz .LBB33_53
.LBB33_48:                              ;   in Loop: Header=BB33_25 Depth=1
	v_lshl_add_u64 v[30:31], v[8:9], 0, s[14:15]
	global_store_dwordx2 v[30:31], v[40:41], off
	s_or_b64 exec, exec, s[2:3]
	s_and_saveexec_b64 s[2:3], s[4:5]
	s_cbranch_execnz .LBB33_54
.LBB33_49:                              ;   in Loop: Header=BB33_25 Depth=1
	s_or_b64 exec, exec, s[2:3]
	s_and_saveexec_b64 s[2:3], s[6:7]
	s_cbranch_execz .LBB33_55
.LBB33_50:                              ;   in Loop: Header=BB33_25 Depth=1
	v_lshl_add_u64 v[30:31], v[18:19], 0, s[14:15]
	global_store_dwordx2 v[30:31], v[32:33], off
	s_or_b64 exec, exec, s[2:3]
	s_and_saveexec_b64 s[2:3], s[8:9]
	s_cbranch_execz .LBB33_24
	s_branch .LBB33_56
.LBB33_51:                              ;   in Loop: Header=BB33_25 Depth=1
	s_andn2_b64 vcc, exec, s[10:11]
	s_cbranch_vccnz .LBB33_47
.LBB33_52:                              ;   in Loop: Header=BB33_25 Depth=1
	v_pk_mul_f32 v[28:29], v[38:39], s[12:13] op_sel:[1,0] op_sel_hi:[0,1]
	v_pk_fma_f32 v[34:35], v[38:39], s[20:21], v[28:29] neg_lo:[0,0,1] neg_hi:[0,0,1]
	v_pk_fma_f32 v[28:29], v[38:39], s[20:21], v[28:29]
	s_nop 0
	v_mov_b32_e32 v35, v29
	v_pk_add_f32 v[28:29], v[30:31], v[34:35]
	s_and_saveexec_b64 s[10:11], s[2:3]
	s_xor_b64 s[2:3], exec, s[10:11]
	s_cbranch_execnz .LBB33_48
.LBB33_53:                              ;   in Loop: Header=BB33_25 Depth=1
	s_or_b64 exec, exec, s[2:3]
	s_and_saveexec_b64 s[2:3], s[4:5]
	s_cbranch_execz .LBB33_49
.LBB33_54:                              ;   in Loop: Header=BB33_25 Depth=1
	v_lshl_add_u64 v[30:31], v[26:27], 0, s[14:15]
	global_store_dwordx2 v[30:31], v[36:37], off
	s_or_b64 exec, exec, s[2:3]
	s_and_saveexec_b64 s[2:3], s[6:7]
	s_cbranch_execnz .LBB33_50
.LBB33_55:                              ;   in Loop: Header=BB33_25 Depth=1
	s_or_b64 exec, exec, s[2:3]
	s_and_saveexec_b64 s[2:3], s[8:9]
	s_cbranch_execz .LBB33_24
.LBB33_56:                              ;   in Loop: Header=BB33_25 Depth=1
	v_lshl_add_u64 v[30:31], v[12:13], 0, s[14:15]
	global_store_dwordx2 v[30:31], v[28:29], off
	s_branch .LBB33_24
.LBB33_57:
	s_endpgm
	.section	.rodata,"a",@progbits
	.p2align	6, 0x0
	.amdhsa_kernel _ZN2at6native12_GLOBAL__N_125multi_tensor_apply_kernelINS1_28TensorListScalarListMetadataIN3c107complexIfEELi2EEENS1_26TernaryOpScalarListFunctorIS6_Li2ELi2ELi0EEEJNS0_11LerpFunctorIS6_EEEEEvT_T0_DpT1_
		.amdhsa_group_segment_fixed_size 0
		.amdhsa_private_segment_fixed_size 0
		.amdhsa_kernarg_size 3912
		.amdhsa_user_sgpr_count 2
		.amdhsa_user_sgpr_dispatch_ptr 0
		.amdhsa_user_sgpr_queue_ptr 0
		.amdhsa_user_sgpr_kernarg_segment_ptr 1
		.amdhsa_user_sgpr_dispatch_id 0
		.amdhsa_user_sgpr_kernarg_preload_length 0
		.amdhsa_user_sgpr_kernarg_preload_offset 0
		.amdhsa_user_sgpr_private_segment_size 0
		.amdhsa_uses_dynamic_stack 0
		.amdhsa_enable_private_segment 0
		.amdhsa_system_sgpr_workgroup_id_x 1
		.amdhsa_system_sgpr_workgroup_id_y 0
		.amdhsa_system_sgpr_workgroup_id_z 0
		.amdhsa_system_sgpr_workgroup_info 0
		.amdhsa_system_vgpr_workitem_id 0
		.amdhsa_next_free_vgpr 50
		.amdhsa_next_free_sgpr 30
		.amdhsa_accum_offset 52
		.amdhsa_reserve_vcc 1
		.amdhsa_float_round_mode_32 0
		.amdhsa_float_round_mode_16_64 0
		.amdhsa_float_denorm_mode_32 3
		.amdhsa_float_denorm_mode_16_64 3
		.amdhsa_dx10_clamp 1
		.amdhsa_ieee_mode 1
		.amdhsa_fp16_overflow 0
		.amdhsa_tg_split 0
		.amdhsa_exception_fp_ieee_invalid_op 0
		.amdhsa_exception_fp_denorm_src 0
		.amdhsa_exception_fp_ieee_div_zero 0
		.amdhsa_exception_fp_ieee_overflow 0
		.amdhsa_exception_fp_ieee_underflow 0
		.amdhsa_exception_fp_ieee_inexact 0
		.amdhsa_exception_int_div_zero 0
	.end_amdhsa_kernel
	.section	.text._ZN2at6native12_GLOBAL__N_125multi_tensor_apply_kernelINS1_28TensorListScalarListMetadataIN3c107complexIfEELi2EEENS1_26TernaryOpScalarListFunctorIS6_Li2ELi2ELi0EEEJNS0_11LerpFunctorIS6_EEEEEvT_T0_DpT1_,"axG",@progbits,_ZN2at6native12_GLOBAL__N_125multi_tensor_apply_kernelINS1_28TensorListScalarListMetadataIN3c107complexIfEELi2EEENS1_26TernaryOpScalarListFunctorIS6_Li2ELi2ELi0EEEJNS0_11LerpFunctorIS6_EEEEEvT_T0_DpT1_,comdat
.Lfunc_end33:
	.size	_ZN2at6native12_GLOBAL__N_125multi_tensor_apply_kernelINS1_28TensorListScalarListMetadataIN3c107complexIfEELi2EEENS1_26TernaryOpScalarListFunctorIS6_Li2ELi2ELi0EEEJNS0_11LerpFunctorIS6_EEEEEvT_T0_DpT1_, .Lfunc_end33-_ZN2at6native12_GLOBAL__N_125multi_tensor_apply_kernelINS1_28TensorListScalarListMetadataIN3c107complexIfEELi2EEENS1_26TernaryOpScalarListFunctorIS6_Li2ELi2ELi0EEEJNS0_11LerpFunctorIS6_EEEEEvT_T0_DpT1_
                                        ; -- End function
	.set _ZN2at6native12_GLOBAL__N_125multi_tensor_apply_kernelINS1_28TensorListScalarListMetadataIN3c107complexIfEELi2EEENS1_26TernaryOpScalarListFunctorIS6_Li2ELi2ELi0EEEJNS0_11LerpFunctorIS6_EEEEEvT_T0_DpT1_.num_vgpr, 50
	.set _ZN2at6native12_GLOBAL__N_125multi_tensor_apply_kernelINS1_28TensorListScalarListMetadataIN3c107complexIfEELi2EEENS1_26TernaryOpScalarListFunctorIS6_Li2ELi2ELi0EEEJNS0_11LerpFunctorIS6_EEEEEvT_T0_DpT1_.num_agpr, 0
	.set _ZN2at6native12_GLOBAL__N_125multi_tensor_apply_kernelINS1_28TensorListScalarListMetadataIN3c107complexIfEELi2EEENS1_26TernaryOpScalarListFunctorIS6_Li2ELi2ELi0EEEJNS0_11LerpFunctorIS6_EEEEEvT_T0_DpT1_.numbered_sgpr, 30
	.set _ZN2at6native12_GLOBAL__N_125multi_tensor_apply_kernelINS1_28TensorListScalarListMetadataIN3c107complexIfEELi2EEENS1_26TernaryOpScalarListFunctorIS6_Li2ELi2ELi0EEEJNS0_11LerpFunctorIS6_EEEEEvT_T0_DpT1_.num_named_barrier, 0
	.set _ZN2at6native12_GLOBAL__N_125multi_tensor_apply_kernelINS1_28TensorListScalarListMetadataIN3c107complexIfEELi2EEENS1_26TernaryOpScalarListFunctorIS6_Li2ELi2ELi0EEEJNS0_11LerpFunctorIS6_EEEEEvT_T0_DpT1_.private_seg_size, 0
	.set _ZN2at6native12_GLOBAL__N_125multi_tensor_apply_kernelINS1_28TensorListScalarListMetadataIN3c107complexIfEELi2EEENS1_26TernaryOpScalarListFunctorIS6_Li2ELi2ELi0EEEJNS0_11LerpFunctorIS6_EEEEEvT_T0_DpT1_.uses_vcc, 1
	.set _ZN2at6native12_GLOBAL__N_125multi_tensor_apply_kernelINS1_28TensorListScalarListMetadataIN3c107complexIfEELi2EEENS1_26TernaryOpScalarListFunctorIS6_Li2ELi2ELi0EEEJNS0_11LerpFunctorIS6_EEEEEvT_T0_DpT1_.uses_flat_scratch, 0
	.set _ZN2at6native12_GLOBAL__N_125multi_tensor_apply_kernelINS1_28TensorListScalarListMetadataIN3c107complexIfEELi2EEENS1_26TernaryOpScalarListFunctorIS6_Li2ELi2ELi0EEEJNS0_11LerpFunctorIS6_EEEEEvT_T0_DpT1_.has_dyn_sized_stack, 0
	.set _ZN2at6native12_GLOBAL__N_125multi_tensor_apply_kernelINS1_28TensorListScalarListMetadataIN3c107complexIfEELi2EEENS1_26TernaryOpScalarListFunctorIS6_Li2ELi2ELi0EEEJNS0_11LerpFunctorIS6_EEEEEvT_T0_DpT1_.has_recursion, 0
	.set _ZN2at6native12_GLOBAL__N_125multi_tensor_apply_kernelINS1_28TensorListScalarListMetadataIN3c107complexIfEELi2EEENS1_26TernaryOpScalarListFunctorIS6_Li2ELi2ELi0EEEJNS0_11LerpFunctorIS6_EEEEEvT_T0_DpT1_.has_indirect_call, 0
	.section	.AMDGPU.csdata,"",@progbits
; Kernel info:
; codeLenInByte = 2356
; TotalNumSgprs: 36
; NumVgprs: 50
; NumAgprs: 0
; TotalNumVgprs: 50
; ScratchSize: 0
; MemoryBound: 1
; FloatMode: 240
; IeeeMode: 1
; LDSByteSize: 0 bytes/workgroup (compile time only)
; SGPRBlocks: 4
; VGPRBlocks: 6
; NumSGPRsForWavesPerEU: 36
; NumVGPRsForWavesPerEU: 50
; AccumOffset: 52
; Occupancy: 8
; WaveLimiterHint : 1
; COMPUTE_PGM_RSRC2:SCRATCH_EN: 0
; COMPUTE_PGM_RSRC2:USER_SGPR: 2
; COMPUTE_PGM_RSRC2:TRAP_HANDLER: 0
; COMPUTE_PGM_RSRC2:TGID_X_EN: 1
; COMPUTE_PGM_RSRC2:TGID_Y_EN: 0
; COMPUTE_PGM_RSRC2:TGID_Z_EN: 0
; COMPUTE_PGM_RSRC2:TIDIG_COMP_CNT: 0
; COMPUTE_PGM_RSRC3_GFX90A:ACCUM_OFFSET: 12
; COMPUTE_PGM_RSRC3_GFX90A:TG_SPLIT: 0
	.section	.text._ZN2at6native12_GLOBAL__N_125multi_tensor_apply_kernelINS1_28TensorListScalarListMetadataIfLi2EEENS1_26TernaryOpScalarListFunctorIN3c104HalfELi2ELi2ELi0EEEJNS0_11LerpFunctorIfEEEEEvT_T0_DpT1_,"axG",@progbits,_ZN2at6native12_GLOBAL__N_125multi_tensor_apply_kernelINS1_28TensorListScalarListMetadataIfLi2EEENS1_26TernaryOpScalarListFunctorIN3c104HalfELi2ELi2ELi0EEEJNS0_11LerpFunctorIfEEEEEvT_T0_DpT1_,comdat
	.globl	_ZN2at6native12_GLOBAL__N_125multi_tensor_apply_kernelINS1_28TensorListScalarListMetadataIfLi2EEENS1_26TernaryOpScalarListFunctorIN3c104HalfELi2ELi2ELi0EEEJNS0_11LerpFunctorIfEEEEEvT_T0_DpT1_ ; -- Begin function _ZN2at6native12_GLOBAL__N_125multi_tensor_apply_kernelINS1_28TensorListScalarListMetadataIfLi2EEENS1_26TernaryOpScalarListFunctorIN3c104HalfELi2ELi2ELi0EEEJNS0_11LerpFunctorIfEEEEEvT_T0_DpT1_
	.p2align	8
	.type	_ZN2at6native12_GLOBAL__N_125multi_tensor_apply_kernelINS1_28TensorListScalarListMetadataIfLi2EEENS1_26TernaryOpScalarListFunctorIN3c104HalfELi2ELi2ELi0EEEJNS0_11LerpFunctorIfEEEEEvT_T0_DpT1_,@function
_ZN2at6native12_GLOBAL__N_125multi_tensor_apply_kernelINS1_28TensorListScalarListMetadataIfLi2EEENS1_26TernaryOpScalarListFunctorIN3c104HalfELi2ELi2ELi0EEEJNS0_11LerpFunctorIfEEEEEvT_T0_DpT1_: ; @_ZN2at6native12_GLOBAL__N_125multi_tensor_apply_kernelINS1_28TensorListScalarListMetadataIfLi2EEENS1_26TernaryOpScalarListFunctorIN3c104HalfELi2ELi2ELi0EEEJNS0_11LerpFunctorIfEEEEEvT_T0_DpT1_
; %bb.0:
	v_mov_b32_e32 v1, s2
	global_load_ubyte v1, v1, s[0:1] offset:1792
	s_add_u32 s4, s0, s2
	s_mul_hi_u32 s5, s2, 3
	s_mul_i32 s2, s2, 3
	s_addc_u32 s6, s1, 0
	s_add_u32 s4, s4, s2
	s_addc_u32 s5, s6, s5
	s_load_dword s10, s[4:5], 0x840
	s_mov_b32 s3, 0
	s_mov_b32 s13, s3
	v_mov_b32_e32 v3, 0
	s_waitcnt lgkmcnt(0)
	s_ashr_i32 s11, s10, 31
	s_waitcnt vmcnt(0)
	v_readfirstlane_b32 s2, v1
	v_lshlrev_b32_e32 v1, 2, v1
	v_sub_co_u32_e32 v4, vcc, 0, v1
	s_lshl_b32 s2, s2, 3
	s_nop 0
	v_subb_co_u32_e64 v5, s[4:5], 0, 0, vcc
	s_load_dwordx2 s[16:17], s[0:1], s2 offset:0x400
	s_load_dwordx2 s[4:5], s[0:1], s2 offset:0x0
	;; [unrolled: 1-line block ×3, first 2 shown]
	s_add_u32 s14, s0, s2
	s_addc_u32 s15, s1, 0
	s_lshl_b64 s[8:9], s[10:11], 17
	v_lshl_add_u64 v[4:5], s[14:15], 0, v[4:5]
	s_waitcnt lgkmcnt(0)
	s_add_u32 s2, s4, s8
	s_lshl_b64 s[18:19], s[10:11], 16
	v_readfirstlane_b32 s10, v4
	v_readfirstlane_b32 s11, v5
	s_and_b32 s12, s6, 7
	s_and_b32 s2, s2, 7
	s_load_dword s10, s[10:11], 0x600
	s_sub_u32 s14, s16, s18
	s_subb_u32 s15, s17, s19
	s_and_b32 s16, s16, 3
	s_mov_b32 s17, s3
	s_or_b64 s[12:13], s[12:13], s[16:17]
	s_or_b64 s[2:3], s[12:13], s[2:3]
	s_cmp_eq_u64 s[2:3], 0
	s_mov_b64 s[2:3], -1
	s_cbranch_scc0 .LBB34_5
; %bb.1:
	v_mov_b64_e32 v[4:5], 0x10000
	v_cmp_lt_i64_e32 vcc, s[14:15], v[4:5]
	s_and_b64 s[2:3], vcc, exec
	s_cselect_b32 s13, s15, 0
	s_cselect_b32 s12, s14, 0x10000
	v_lshlrev_b32_e32 v2, 2, v0
	v_cmp_gt_i64_e32 vcc, s[12:13], v[2:3]
	s_and_saveexec_b64 s[16:17], vcc
	s_cbranch_execz .LBB34_4
; %bb.2:
	s_load_dword s2, s[0:1], 0xd54
	s_waitcnt lgkmcnt(0)
	v_sub_f32_e64 v2, 1.0, s10
	v_mov_b32_e32 v1, v3
	s_mov_b32 s19, 0
	v_lshlrev_b32_e32 v4, 3, v0
	s_and_b32 s18, s2, 0xffff
	v_mov_b32_e32 v5, 0
	v_xor_b32_e32 v6, 0x80000000, v2
	v_cmp_lt_f32_e64 vcc, |s10|, 0.5
	s_mov_b32 s11, s10
	s_mov_b32 s20, s10
	;; [unrolled: 1-line block ×3, first 2 shown]
	v_mov_b32_e32 v3, v2
	v_lshl_add_u64 v[4:5], s[8:9], 0, v[4:5]
	s_lshl_b32 s22, s18, 3
	s_mov_b32 s23, s19
	s_mov_b64 s[24:25], 0
	v_mov_b32_e32 v7, v6
	v_mov_b64_e32 v[8:9], v[0:1]
.LBB34_3:                               ; =>This Inner Loop Header: Depth=1
	v_lshl_add_u64 v[10:11], s[4:5], 0, v[4:5]
	v_lshl_add_u64 v[12:13], s[6:7], 0, v[4:5]
	global_load_dwordx2 v[14:15], v[10:11], off
	global_load_dwordx2 v[16:17], v[12:13], off
	v_lshl_add_u64 v[8:9], v[8:9], 0, s[18:19]
	v_lshlrev_b64 v[12:13], 2, v[8:9]
	v_cmp_le_i64_e64 s[2:3], s[12:13], v[12:13]
	v_lshl_add_u64 v[4:5], v[4:5], 0, s[22:23]
	s_or_b64 s[24:25], s[2:3], s[24:25]
	s_waitcnt vmcnt(1)
	v_cvt_f32_f16_sdwa v13, v15 dst_sel:DWORD dst_unused:UNUSED_PAD src0_sel:WORD_1
	v_cvt_f32_f16_e32 v12, v15
	v_cvt_f32_f16_sdwa v15, v14 dst_sel:DWORD dst_unused:UNUSED_PAD src0_sel:WORD_1
	v_cvt_f32_f16_e32 v14, v14
	s_waitcnt vmcnt(0)
	v_cvt_f32_f16_e32 v18, v16
	v_cvt_f32_f16_sdwa v19, v16 dst_sel:DWORD dst_unused:UNUSED_PAD src0_sel:WORD_1
	v_cvt_f32_f16_e32 v16, v17
	v_cvt_f32_f16_sdwa v17, v17 dst_sel:DWORD dst_unused:UNUSED_PAD src0_sel:WORD_1
	v_sub_f32_e32 v20, v18, v14
	v_sub_f32_e32 v21, v19, v15
	;; [unrolled: 1-line block ×4, first 2 shown]
	v_pk_fma_f32 v[12:13], s[20:21], v[22:23], v[12:13]
	v_pk_fma_f32 v[14:15], s[10:11], v[20:21], v[14:15]
	;; [unrolled: 1-line block ×3, first 2 shown]
	v_pk_fma_f32 v[18:19], v[2:3], v[20:21], v[18:19] neg_lo:[1,0,0] neg_hi:[1,0,0]
	v_cndmask_b32_e32 v13, v17, v13, vcc
	v_cndmask_b32_e32 v1, v19, v15, vcc
	;; [unrolled: 1-line block ×4, first 2 shown]
	v_cvt_pk_f16_f32 v13, v12, v13
	v_cvt_pk_f16_f32 v12, v14, v1
	global_store_dwordx2 v[10:11], v[12:13], off
	s_andn2_b64 exec, exec, s[24:25]
	s_cbranch_execnz .LBB34_3
.LBB34_4:
	s_or_b64 exec, exec, s[16:17]
	s_mov_b64 s[2:3], 0
.LBB34_5:
	s_andn2_b64 vcc, exec, s[2:3]
	s_cbranch_vccnz .LBB34_25
; %bb.6:
	v_cmp_lt_i64_e64 s[2:3], s[14:15], 1
	s_and_b64 vcc, exec, s[2:3]
	s_cbranch_vccnz .LBB34_25
; %bb.7:
	s_load_dword s2, s[0:1], 0xd54
	v_mov_b64_e32 v[2:3], 0x10000
	v_cmp_lt_i64_e32 vcc, s[14:15], v[2:3]
	s_and_b64 s[0:1], vcc, exec
	s_cselect_b32 s13, s15, 0
	s_cselect_b32 s12, s14, 0x10000
	s_waitcnt lgkmcnt(0)
	s_and_b32 s2, s2, 0xffff
	v_cmp_lt_u64_e32 vcc, s[14:15], v[2:3]
	s_mov_b32 s3, 0
	v_mov_b32_e32 v1, 0
	s_and_b64 s[0:1], vcc, exec
	s_cselect_b32 s15, s15, 0
	s_cselect_b32 s14, s14, 0x10000
	s_lshl_b32 s16, s2, 2
	s_mov_b32 s17, s3
	v_lshlrev_b32_e32 v12, 1, v0
	v_mov_b32_e32 v13, v1
	v_lshl_add_u64 v[18:19], v[0:1], 0, s[2:3]
	s_lshl_b32 s20, s2, 1
	s_mov_b32 s21, s3
	s_mul_i32 s22, s2, 3
	s_mov_b32 s23, s3
	v_mad_u64_u32 v[8:9], s[24:25], s2, 6, v[12:13]
	v_lshl_add_u64 v[14:15], s[16:17], 0, v[12:13]
	v_lshlrev_b32_e32 v22, 1, v18
	v_mov_b32_e32 v23, v1
	v_cmp_lt_f32_e64 s[0:1], |s10|, 0.5
	v_sub_f32_e64 v24, 1.0, s10
	v_lshl_add_u64 v[2:3], s[4:5], 0, v[12:13]
	s_lshl_b32 s18, s2, 3
	s_mov_b32 s19, s3
	v_lshl_add_u64 v[4:5], s[6:7], 0, v[12:13]
	v_lshl_add_u64 v[6:7], s[4:5], 0, v[8:9]
	;; [unrolled: 1-line block ×9, first 2 shown]
	s_mov_b64 s[20:21], 0
	s_branch .LBB34_9
.LBB34_8:                               ;   in Loop: Header=BB34_9 Depth=1
	s_or_b64 exec, exec, s[2:3]
	s_add_u32 s20, s20, s16
	s_addc_u32 s21, s21, 0
	v_mov_b64_e32 v[26:27], s[12:13]
	v_cmp_ge_i64_e32 vcc, s[20:21], v[26:27]
	v_lshl_add_u64 v[2:3], v[2:3], 0, s[18:19]
	v_lshl_add_u64 v[4:5], v[4:5], 0, s[18:19]
	;; [unrolled: 1-line block ×8, first 2 shown]
	s_cbranch_vccnz .LBB34_25
.LBB34_9:                               ; =>This Inner Loop Header: Depth=1
	v_lshl_add_u64 v[26:27], v[0:1], 0, s[20:21]
	v_cmp_gt_u64_e32 vcc, s[14:15], v[26:27]
	v_mov_b32_e32 v27, 0
	v_mov_b32_e32 v26, 0
	s_and_saveexec_b64 s[2:3], vcc
	s_cbranch_execz .LBB34_11
; %bb.10:                               ;   in Loop: Header=BB34_9 Depth=1
	v_lshl_add_u64 v[28:29], v[2:3], 0, s[8:9]
	v_lshl_add_u64 v[26:27], v[4:5], 0, s[8:9]
	global_load_ushort v25, v[28:29], off
	global_load_ushort v30, v[26:27], off
	s_waitcnt vmcnt(1)
	v_cvt_f32_f16_e32 v26, v25
	s_waitcnt vmcnt(0)
	v_cvt_f32_f16_e32 v27, v30
.LBB34_11:                              ;   in Loop: Header=BB34_9 Depth=1
	s_or_b64 exec, exec, s[2:3]
	v_lshl_add_u64 v[28:29], v[18:19], 0, s[20:21]
	v_cmp_gt_u64_e64 s[2:3], s[14:15], v[28:29]
	v_mov_b32_e32 v25, 0
	v_mov_b32_e32 v29, 0
	;; [unrolled: 1-line block ×3, first 2 shown]
	s_and_saveexec_b64 s[4:5], s[2:3]
	s_cbranch_execz .LBB34_13
; %bb.12:                               ;   in Loop: Header=BB34_9 Depth=1
	v_lshl_add_u64 v[30:31], v[20:21], 0, s[8:9]
	v_lshl_add_u64 v[28:29], v[22:23], 0, s[8:9]
	global_load_ushort v32, v[30:31], off
	global_load_ushort v33, v[28:29], off
	s_waitcnt vmcnt(1)
	v_cvt_f32_f16_e32 v28, v32
	s_waitcnt vmcnt(0)
	v_cvt_f32_f16_e32 v29, v33
.LBB34_13:                              ;   in Loop: Header=BB34_9 Depth=1
	s_or_b64 exec, exec, s[4:5]
	v_lshl_add_u64 v[30:31], v[16:17], 0, s[20:21]
	v_cmp_gt_u64_e64 s[4:5], s[14:15], v[30:31]
	v_mov_b32_e32 v30, 0
	s_and_saveexec_b64 s[6:7], s[4:5]
	s_cbranch_execz .LBB34_15
; %bb.14:                               ;   in Loop: Header=BB34_9 Depth=1
	v_lshl_add_u64 v[32:33], v[12:13], 0, s[8:9]
	v_lshl_add_u64 v[30:31], v[14:15], 0, s[8:9]
	global_load_ushort v25, v[32:33], off
	global_load_ushort v34, v[30:31], off
	s_waitcnt vmcnt(1)
	v_cvt_f32_f16_e32 v30, v25
	s_waitcnt vmcnt(0)
	v_cvt_f32_f16_e32 v25, v34
.LBB34_15:                              ;   in Loop: Header=BB34_9 Depth=1
	s_or_b64 exec, exec, s[6:7]
	v_lshl_add_u64 v[32:33], v[10:11], 0, s[20:21]
	v_cmp_gt_u64_e64 s[6:7], s[14:15], v[32:33]
	v_mov_b32_e32 v31, 0
	v_mov_b32_e32 v32, 0
	s_and_saveexec_b64 s[22:23], s[6:7]
	s_cbranch_execnz .LBB34_20
; %bb.16:                               ;   in Loop: Header=BB34_9 Depth=1
	s_or_b64 exec, exec, s[22:23]
	s_and_saveexec_b64 s[22:23], vcc
	s_cbranch_execnz .LBB34_21
.LBB34_17:                              ;   in Loop: Header=BB34_9 Depth=1
	s_or_b64 exec, exec, s[22:23]
	s_and_saveexec_b64 s[22:23], s[2:3]
	s_cbranch_execnz .LBB34_22
.LBB34_18:                              ;   in Loop: Header=BB34_9 Depth=1
	s_or_b64 exec, exec, s[22:23]
	s_and_saveexec_b64 s[2:3], s[4:5]
	s_cbranch_execnz .LBB34_23
.LBB34_19:                              ;   in Loop: Header=BB34_9 Depth=1
	s_or_b64 exec, exec, s[2:3]
	s_and_saveexec_b64 s[2:3], s[6:7]
	s_cbranch_execz .LBB34_8
	s_branch .LBB34_24
.LBB34_20:                              ;   in Loop: Header=BB34_9 Depth=1
	v_lshl_add_u64 v[34:35], v[6:7], 0, s[8:9]
	v_lshl_add_u64 v[32:33], v[8:9], 0, s[8:9]
	global_load_ushort v31, v[34:35], off
	global_load_ushort v36, v[32:33], off
	s_waitcnt vmcnt(1)
	v_cvt_f32_f16_e32 v32, v31
	s_waitcnt vmcnt(0)
	v_cvt_f32_f16_e32 v31, v36
	s_or_b64 exec, exec, s[22:23]
	s_and_saveexec_b64 s[22:23], vcc
	s_cbranch_execz .LBB34_17
.LBB34_21:                              ;   in Loop: Header=BB34_9 Depth=1
	v_sub_f32_e32 v33, v27, v26
	v_fmac_f32_e32 v26, s10, v33
	v_fma_f32 v27, -v24, v33, v27
	v_cndmask_b32_e64 v26, v27, v26, s[0:1]
	v_cvt_f16_f32_e32 v33, v26
	v_lshl_add_u64 v[26:27], v[2:3], 0, s[8:9]
	global_store_short v[26:27], v33, off
	s_or_b64 exec, exec, s[22:23]
	s_and_saveexec_b64 s[22:23], s[2:3]
	s_cbranch_execz .LBB34_18
.LBB34_22:                              ;   in Loop: Header=BB34_9 Depth=1
	v_sub_f32_e32 v26, v29, v28
	v_fmac_f32_e32 v28, s10, v26
	v_fma_f32 v26, -v24, v26, v29
	v_cndmask_b32_e64 v26, v26, v28, s[0:1]
	v_cvt_f16_f32_e32 v28, v26
	v_lshl_add_u64 v[26:27], v[20:21], 0, s[8:9]
	global_store_short v[26:27], v28, off
	s_or_b64 exec, exec, s[22:23]
	s_and_saveexec_b64 s[2:3], s[4:5]
	s_cbranch_execz .LBB34_19
.LBB34_23:                              ;   in Loop: Header=BB34_9 Depth=1
	v_sub_f32_e32 v26, v25, v30
	v_fmac_f32_e32 v30, s10, v26
	v_fma_f32 v25, -v24, v26, v25
	v_cndmask_b32_e64 v25, v25, v30, s[0:1]
	v_cvt_f16_f32_e32 v25, v25
	v_lshl_add_u64 v[26:27], v[12:13], 0, s[8:9]
	global_store_short v[26:27], v25, off
	s_or_b64 exec, exec, s[2:3]
	s_and_saveexec_b64 s[2:3], s[6:7]
	s_cbranch_execz .LBB34_8
.LBB34_24:                              ;   in Loop: Header=BB34_9 Depth=1
	v_sub_f32_e32 v25, v31, v32
	v_fmac_f32_e32 v32, s10, v25
	v_fma_f32 v25, -v24, v25, v31
	v_cndmask_b32_e64 v25, v25, v32, s[0:1]
	v_cvt_f16_f32_e32 v25, v25
	v_lshl_add_u64 v[26:27], v[6:7], 0, s[8:9]
	global_store_short v[26:27], v25, off
	s_branch .LBB34_8
.LBB34_25:
	s_endpgm
	.section	.rodata,"a",@progbits
	.p2align	6, 0x0
	.amdhsa_kernel _ZN2at6native12_GLOBAL__N_125multi_tensor_apply_kernelINS1_28TensorListScalarListMetadataIfLi2EEENS1_26TernaryOpScalarListFunctorIN3c104HalfELi2ELi2ELi0EEEJNS0_11LerpFunctorIfEEEEEvT_T0_DpT1_
		.amdhsa_group_segment_fixed_size 0
		.amdhsa_private_segment_fixed_size 0
		.amdhsa_kernarg_size 3656
		.amdhsa_user_sgpr_count 2
		.amdhsa_user_sgpr_dispatch_ptr 0
		.amdhsa_user_sgpr_queue_ptr 0
		.amdhsa_user_sgpr_kernarg_segment_ptr 1
		.amdhsa_user_sgpr_dispatch_id 0
		.amdhsa_user_sgpr_kernarg_preload_length 0
		.amdhsa_user_sgpr_kernarg_preload_offset 0
		.amdhsa_user_sgpr_private_segment_size 0
		.amdhsa_uses_dynamic_stack 0
		.amdhsa_enable_private_segment 0
		.amdhsa_system_sgpr_workgroup_id_x 1
		.amdhsa_system_sgpr_workgroup_id_y 0
		.amdhsa_system_sgpr_workgroup_id_z 0
		.amdhsa_system_sgpr_workgroup_info 0
		.amdhsa_system_vgpr_workitem_id 0
		.amdhsa_next_free_vgpr 37
		.amdhsa_next_free_sgpr 26
		.amdhsa_accum_offset 40
		.amdhsa_reserve_vcc 1
		.amdhsa_float_round_mode_32 0
		.amdhsa_float_round_mode_16_64 0
		.amdhsa_float_denorm_mode_32 3
		.amdhsa_float_denorm_mode_16_64 3
		.amdhsa_dx10_clamp 1
		.amdhsa_ieee_mode 1
		.amdhsa_fp16_overflow 0
		.amdhsa_tg_split 0
		.amdhsa_exception_fp_ieee_invalid_op 0
		.amdhsa_exception_fp_denorm_src 0
		.amdhsa_exception_fp_ieee_div_zero 0
		.amdhsa_exception_fp_ieee_overflow 0
		.amdhsa_exception_fp_ieee_underflow 0
		.amdhsa_exception_fp_ieee_inexact 0
		.amdhsa_exception_int_div_zero 0
	.end_amdhsa_kernel
	.section	.text._ZN2at6native12_GLOBAL__N_125multi_tensor_apply_kernelINS1_28TensorListScalarListMetadataIfLi2EEENS1_26TernaryOpScalarListFunctorIN3c104HalfELi2ELi2ELi0EEEJNS0_11LerpFunctorIfEEEEEvT_T0_DpT1_,"axG",@progbits,_ZN2at6native12_GLOBAL__N_125multi_tensor_apply_kernelINS1_28TensorListScalarListMetadataIfLi2EEENS1_26TernaryOpScalarListFunctorIN3c104HalfELi2ELi2ELi0EEEJNS0_11LerpFunctorIfEEEEEvT_T0_DpT1_,comdat
.Lfunc_end34:
	.size	_ZN2at6native12_GLOBAL__N_125multi_tensor_apply_kernelINS1_28TensorListScalarListMetadataIfLi2EEENS1_26TernaryOpScalarListFunctorIN3c104HalfELi2ELi2ELi0EEEJNS0_11LerpFunctorIfEEEEEvT_T0_DpT1_, .Lfunc_end34-_ZN2at6native12_GLOBAL__N_125multi_tensor_apply_kernelINS1_28TensorListScalarListMetadataIfLi2EEENS1_26TernaryOpScalarListFunctorIN3c104HalfELi2ELi2ELi0EEEJNS0_11LerpFunctorIfEEEEEvT_T0_DpT1_
                                        ; -- End function
	.set _ZN2at6native12_GLOBAL__N_125multi_tensor_apply_kernelINS1_28TensorListScalarListMetadataIfLi2EEENS1_26TernaryOpScalarListFunctorIN3c104HalfELi2ELi2ELi0EEEJNS0_11LerpFunctorIfEEEEEvT_T0_DpT1_.num_vgpr, 37
	.set _ZN2at6native12_GLOBAL__N_125multi_tensor_apply_kernelINS1_28TensorListScalarListMetadataIfLi2EEENS1_26TernaryOpScalarListFunctorIN3c104HalfELi2ELi2ELi0EEEJNS0_11LerpFunctorIfEEEEEvT_T0_DpT1_.num_agpr, 0
	.set _ZN2at6native12_GLOBAL__N_125multi_tensor_apply_kernelINS1_28TensorListScalarListMetadataIfLi2EEENS1_26TernaryOpScalarListFunctorIN3c104HalfELi2ELi2ELi0EEEJNS0_11LerpFunctorIfEEEEEvT_T0_DpT1_.numbered_sgpr, 26
	.set _ZN2at6native12_GLOBAL__N_125multi_tensor_apply_kernelINS1_28TensorListScalarListMetadataIfLi2EEENS1_26TernaryOpScalarListFunctorIN3c104HalfELi2ELi2ELi0EEEJNS0_11LerpFunctorIfEEEEEvT_T0_DpT1_.num_named_barrier, 0
	.set _ZN2at6native12_GLOBAL__N_125multi_tensor_apply_kernelINS1_28TensorListScalarListMetadataIfLi2EEENS1_26TernaryOpScalarListFunctorIN3c104HalfELi2ELi2ELi0EEEJNS0_11LerpFunctorIfEEEEEvT_T0_DpT1_.private_seg_size, 0
	.set _ZN2at6native12_GLOBAL__N_125multi_tensor_apply_kernelINS1_28TensorListScalarListMetadataIfLi2EEENS1_26TernaryOpScalarListFunctorIN3c104HalfELi2ELi2ELi0EEEJNS0_11LerpFunctorIfEEEEEvT_T0_DpT1_.uses_vcc, 1
	.set _ZN2at6native12_GLOBAL__N_125multi_tensor_apply_kernelINS1_28TensorListScalarListMetadataIfLi2EEENS1_26TernaryOpScalarListFunctorIN3c104HalfELi2ELi2ELi0EEEJNS0_11LerpFunctorIfEEEEEvT_T0_DpT1_.uses_flat_scratch, 0
	.set _ZN2at6native12_GLOBAL__N_125multi_tensor_apply_kernelINS1_28TensorListScalarListMetadataIfLi2EEENS1_26TernaryOpScalarListFunctorIN3c104HalfELi2ELi2ELi0EEEJNS0_11LerpFunctorIfEEEEEvT_T0_DpT1_.has_dyn_sized_stack, 0
	.set _ZN2at6native12_GLOBAL__N_125multi_tensor_apply_kernelINS1_28TensorListScalarListMetadataIfLi2EEENS1_26TernaryOpScalarListFunctorIN3c104HalfELi2ELi2ELi0EEEJNS0_11LerpFunctorIfEEEEEvT_T0_DpT1_.has_recursion, 0
	.set _ZN2at6native12_GLOBAL__N_125multi_tensor_apply_kernelINS1_28TensorListScalarListMetadataIfLi2EEENS1_26TernaryOpScalarListFunctorIN3c104HalfELi2ELi2ELi0EEEJNS0_11LerpFunctorIfEEEEEvT_T0_DpT1_.has_indirect_call, 0
	.section	.AMDGPU.csdata,"",@progbits
; Kernel info:
; codeLenInByte = 1564
; TotalNumSgprs: 32
; NumVgprs: 37
; NumAgprs: 0
; TotalNumVgprs: 37
; ScratchSize: 0
; MemoryBound: 0
; FloatMode: 240
; IeeeMode: 1
; LDSByteSize: 0 bytes/workgroup (compile time only)
; SGPRBlocks: 3
; VGPRBlocks: 4
; NumSGPRsForWavesPerEU: 32
; NumVGPRsForWavesPerEU: 37
; AccumOffset: 40
; Occupancy: 8
; WaveLimiterHint : 0
; COMPUTE_PGM_RSRC2:SCRATCH_EN: 0
; COMPUTE_PGM_RSRC2:USER_SGPR: 2
; COMPUTE_PGM_RSRC2:TRAP_HANDLER: 0
; COMPUTE_PGM_RSRC2:TGID_X_EN: 1
; COMPUTE_PGM_RSRC2:TGID_Y_EN: 0
; COMPUTE_PGM_RSRC2:TGID_Z_EN: 0
; COMPUTE_PGM_RSRC2:TIDIG_COMP_CNT: 0
; COMPUTE_PGM_RSRC3_GFX90A:ACCUM_OFFSET: 9
; COMPUTE_PGM_RSRC3_GFX90A:TG_SPLIT: 0
	.section	.text._ZN2at6native12_GLOBAL__N_125multi_tensor_apply_kernelINS1_28TensorListScalarListMetadataIfLi2EEENS1_26TernaryOpScalarListFunctorIN3c108BFloat16ELi2ELi2ELi0EEEJNS0_11LerpFunctorIfEEEEEvT_T0_DpT1_,"axG",@progbits,_ZN2at6native12_GLOBAL__N_125multi_tensor_apply_kernelINS1_28TensorListScalarListMetadataIfLi2EEENS1_26TernaryOpScalarListFunctorIN3c108BFloat16ELi2ELi2ELi0EEEJNS0_11LerpFunctorIfEEEEEvT_T0_DpT1_,comdat
	.globl	_ZN2at6native12_GLOBAL__N_125multi_tensor_apply_kernelINS1_28TensorListScalarListMetadataIfLi2EEENS1_26TernaryOpScalarListFunctorIN3c108BFloat16ELi2ELi2ELi0EEEJNS0_11LerpFunctorIfEEEEEvT_T0_DpT1_ ; -- Begin function _ZN2at6native12_GLOBAL__N_125multi_tensor_apply_kernelINS1_28TensorListScalarListMetadataIfLi2EEENS1_26TernaryOpScalarListFunctorIN3c108BFloat16ELi2ELi2ELi0EEEJNS0_11LerpFunctorIfEEEEEvT_T0_DpT1_
	.p2align	8
	.type	_ZN2at6native12_GLOBAL__N_125multi_tensor_apply_kernelINS1_28TensorListScalarListMetadataIfLi2EEENS1_26TernaryOpScalarListFunctorIN3c108BFloat16ELi2ELi2ELi0EEEJNS0_11LerpFunctorIfEEEEEvT_T0_DpT1_,@function
_ZN2at6native12_GLOBAL__N_125multi_tensor_apply_kernelINS1_28TensorListScalarListMetadataIfLi2EEENS1_26TernaryOpScalarListFunctorIN3c108BFloat16ELi2ELi2ELi0EEEJNS0_11LerpFunctorIfEEEEEvT_T0_DpT1_: ; @_ZN2at6native12_GLOBAL__N_125multi_tensor_apply_kernelINS1_28TensorListScalarListMetadataIfLi2EEENS1_26TernaryOpScalarListFunctorIN3c108BFloat16ELi2ELi2ELi0EEEJNS0_11LerpFunctorIfEEEEEvT_T0_DpT1_
; %bb.0:
	v_mov_b32_e32 v1, s2
	global_load_ubyte v1, v1, s[0:1] offset:1792
	s_add_u32 s4, s0, s2
	s_mul_hi_u32 s7, s2, 3
	s_mul_i32 s2, s2, 3
	s_addc_u32 s8, s1, 0
	s_add_u32 s6, s4, s2
	s_addc_u32 s7, s8, s7
	s_load_dword s6, s[6:7], 0x840
	s_mov_b32 s3, 0
	s_mov_b32 s5, s3
	v_mov_b32_e32 v3, 0
	s_waitcnt lgkmcnt(0)
	s_ashr_i32 s7, s6, 31
	s_waitcnt vmcnt(0)
	v_readfirstlane_b32 s2, v1
	s_lshl_b32 s2, s2, 3
	v_lshlrev_b32_e32 v1, 2, v1
	s_load_dwordx2 s[10:11], s[0:1], s2 offset:0x400
	s_load_dwordx2 s[18:19], s[0:1], s2 offset:0x0
	;; [unrolled: 1-line block ×3, first 2 shown]
	v_sub_co_u32_e32 v4, vcc, 0, v1
	s_add_u32 s12, s0, s2
	s_nop 0
	v_subb_co_u32_e64 v5, s[8:9], 0, 0, vcc
	s_addc_u32 s13, s1, 0
	s_lshl_b64 s[8:9], s[6:7], 17
	v_lshl_add_u64 v[4:5], s[12:13], 0, v[4:5]
	s_waitcnt lgkmcnt(0)
	s_add_u32 s2, s18, s8
	s_lshl_b64 s[6:7], s[6:7], 16
	v_readfirstlane_b32 s12, v4
	v_readfirstlane_b32 s13, v5
	s_and_b32 s4, s20, 7
	s_and_b32 s2, s2, 7
	s_load_dword s26, s[12:13], 0x600
	s_sub_u32 s14, s10, s6
	s_subb_u32 s15, s11, s7
	s_and_b32 s6, s10, 3
	s_mov_b32 s7, s3
	s_or_b64 s[4:5], s[4:5], s[6:7]
	s_or_b64 s[2:3], s[4:5], s[2:3]
	s_cmp_eq_u64 s[2:3], 0
	s_mov_b64 s[2:3], -1
	s_cbranch_scc0 .LBB35_5
; %bb.1:
	v_mov_b64_e32 v[4:5], 0x10000
	v_cmp_lt_i64_e32 vcc, s[14:15], v[4:5]
	s_and_b64 s[2:3], vcc, exec
	s_cselect_b32 s11, s15, 0
	s_cselect_b32 s10, s14, 0x10000
	v_lshlrev_b32_e32 v2, 2, v0
	v_cmp_gt_i64_e32 vcc, s[10:11], v[2:3]
	s_and_saveexec_b64 s[12:13], vcc
	s_cbranch_execz .LBB35_4
; %bb.2:
	s_load_dword s2, s[0:1], 0xd54
	v_mov_b32_e32 v1, v3
	s_mov_b32 s17, 0
	v_lshlrev_b32_e32 v2, 3, v0
	v_mov_b32_e32 v3, 0
	s_waitcnt lgkmcnt(0)
	s_and_b32 s16, s2, 0xffff
	v_cmp_lt_f32_e64 vcc, |s26|, 0.5
	v_sub_f32_e64 v6, 1.0, s26
	v_lshl_add_u64 v[2:3], s[8:9], 0, v[2:3]
	s_lshl_b32 s22, s16, 3
	s_mov_b32 s23, s17
	s_mov_b64 s[24:25], 0
	s_movk_i32 s27, 0x7fff
	v_mov_b32_e32 v7, 0x7fc0
	v_mov_b32_e32 v8, 0x7fc00000
	v_mov_b64_e32 v[4:5], v[0:1]
.LBB35_3:                               ; =>This Inner Loop Header: Depth=1
	v_lshl_add_u64 v[10:11], s[18:19], 0, v[2:3]
	v_lshl_add_u64 v[12:13], s[20:21], 0, v[2:3]
	global_load_dwordx2 v[14:15], v[10:11], off
	global_load_dwordx2 v[16:17], v[12:13], off
	v_lshl_add_u64 v[4:5], v[4:5], 0, s[16:17]
	v_lshlrev_b64 v[12:13], 2, v[4:5]
	v_cmp_le_i64_e64 s[2:3], s[10:11], v[12:13]
	s_or_b64 s[24:25], s[2:3], s[24:25]
	v_lshl_add_u64 v[2:3], v[2:3], 0, s[22:23]
	s_waitcnt vmcnt(1)
	v_lshlrev_b32_e32 v1, 16, v14
	s_waitcnt vmcnt(0)
	v_lshlrev_b32_e32 v9, 16, v16
	v_and_b32_e32 v12, 0xffff0000, v14
	v_and_b32_e32 v13, 0xffff0000, v16
	v_alignbit_b32 v14, v15, v14, 16
	v_alignbit_b32 v16, v17, v16, 16
	v_and_b32_e32 v15, 0xffff0000, v15
	v_and_b32_e32 v17, 0xffff0000, v17
	v_sub_f32_e32 v18, v9, v1
	v_sub_f32_e32 v19, v13, v12
	v_and_b32_e32 v14, 0xffff0000, v14
	v_and_b32_e32 v16, 0xffff0000, v16
	v_sub_f32_e32 v20, v17, v15
	v_fmac_f32_e32 v1, s26, v18
	v_fma_f32 v9, -v6, v18, v9
	v_fmac_f32_e32 v12, s26, v19
	v_fma_f32 v13, -v6, v19, v13
	v_sub_f32_e32 v18, v16, v14
	v_fmac_f32_e32 v15, s26, v20
	v_fma_f32 v17, -v6, v20, v17
	v_cndmask_b32_e32 v1, v9, v1, vcc
	v_cndmask_b32_e32 v9, v13, v12, vcc
	v_fmac_f32_e32 v14, s26, v18
	v_fma_f32 v12, -v6, v18, v16
	v_cndmask_b32_e32 v13, v17, v15, vcc
	v_bfe_u32 v15, v1, 16, 1
	v_bfe_u32 v16, v9, 16, 1
	v_cndmask_b32_e32 v12, v12, v14, vcc
	v_bfe_u32 v14, v13, 16, 1
	v_add3_u32 v15, v1, v15, s27
	v_add3_u32 v16, v9, v16, s27
	v_bfe_u32 v17, v12, 16, 1
	v_add3_u32 v14, v13, v14, s27
	v_lshrrev_b32_e32 v15, 16, v15
	v_and_b32_e32 v16, 0xffff0000, v16
	v_cmp_o_f32_e64 s[2:3], v9, v9
	v_add3_u32 v9, v12, v17, s27
	v_cmp_o_f32_e64 s[6:7], v1, v1
	v_and_b32_e32 v14, 0xffff0000, v14
	v_cmp_o_f32_e64 s[4:5], v13, v13
	v_cndmask_b32_e64 v1, v7, v15, s[6:7]
	v_cndmask_b32_e64 v13, v8, v16, s[2:3]
	v_lshrrev_b32_e32 v9, 16, v9
	v_cmp_o_f32_e64 s[2:3], v12, v12
	v_cndmask_b32_e64 v12, v8, v14, s[4:5]
	v_or_b32_e32 v1, v1, v13
	v_cndmask_b32_e64 v9, v7, v9, s[2:3]
	v_or3_b32 v13, 0, v9, v12
	v_or3_b32 v12, v1, 0, 0
	global_store_dwordx2 v[10:11], v[12:13], off
	s_andn2_b64 exec, exec, s[24:25]
	s_cbranch_execnz .LBB35_3
.LBB35_4:
	s_or_b64 exec, exec, s[12:13]
	s_mov_b64 s[2:3], 0
.LBB35_5:
	s_andn2_b64 vcc, exec, s[2:3]
	s_cbranch_vccnz .LBB35_25
; %bb.6:
	v_cmp_lt_i64_e64 s[2:3], s[14:15], 1
	s_and_b64 vcc, exec, s[2:3]
	s_cbranch_vccnz .LBB35_25
; %bb.7:
	s_load_dword s0, s[0:1], 0xd54
	v_mov_b64_e32 v[4:5], 0x10000
	v_cmp_lt_i64_e32 vcc, s[14:15], v[4:5]
	s_and_b64 s[2:3], vcc, exec
	s_mov_b32 s11, 0
	s_cselect_b32 s13, s15, 0
	s_cselect_b32 s12, s14, 0x10000
	v_mov_b32_e32 v2, 0
	s_waitcnt lgkmcnt(0)
	s_and_b32 s2, s0, 0xffff
	v_cmp_lt_u64_e32 vcc, s[14:15], v[4:5]
	v_mov_b32_e32 v1, v2
	s_and_b64 s[0:1], vcc, exec
	s_mov_b32 s3, s11
	s_cselect_b32 s15, s15, 0
	s_cselect_b32 s14, s14, 0x10000
	s_lshl_b32 s10, s2, 2
	v_lshlrev_b32_e32 v14, 1, v0
	v_mov_b32_e32 v15, v2
	v_lshl_add_u64 v[20:21], v[0:1], 0, s[2:3]
	s_lshl_b32 s4, s2, 1
	s_mov_b32 s5, s11
	s_mul_i32 s6, s2, 3
	s_mov_b32 s7, s11
	v_mad_u64_u32 v[10:11], s[22:23], s2, 6, v[14:15]
	v_lshl_add_u64 v[16:17], s[10:11], 0, v[14:15]
	v_lshlrev_b32_e32 v24, 1, v20
	v_mov_b32_e32 v25, v2
	v_cmp_lt_f32_e64 s[0:1], |s26|, 0.5
	v_sub_f32_e64 v30, 1.0, s26
	v_lshl_add_u64 v[4:5], s[18:19], 0, v[14:15]
	s_lshl_b32 s16, s2, 3
	s_mov_b32 s17, s11
	v_lshl_add_u64 v[6:7], s[20:21], 0, v[14:15]
	v_lshl_add_u64 v[8:9], s[18:19], 0, v[10:11]
	;; [unrolled: 1-line block ×9, first 2 shown]
	s_mov_b64 s[18:19], 0
	s_movk_i32 s22, 0x7fff
	v_mov_b32_e32 v31, 0x7fc0
	s_branch .LBB35_9
.LBB35_8:                               ;   in Loop: Header=BB35_9 Depth=1
	s_or_b64 exec, exec, s[2:3]
	s_add_u32 s18, s18, s10
	s_addc_u32 s19, s19, 0
	v_mov_b64_e32 v[26:27], s[12:13]
	v_cmp_ge_i64_e32 vcc, s[18:19], v[26:27]
	v_lshl_add_u64 v[4:5], v[4:5], 0, s[16:17]
	v_lshl_add_u64 v[6:7], v[6:7], 0, s[16:17]
	;; [unrolled: 1-line block ×8, first 2 shown]
	s_cbranch_vccnz .LBB35_25
.LBB35_9:                               ; =>This Inner Loop Header: Depth=1
	v_lshl_add_u64 v[26:27], v[0:1], 0, s[18:19]
	v_cmp_gt_u64_e32 vcc, s[14:15], v[26:27]
	v_mov_b64_e32 v[26:27], 0
	v_mov_b64_e32 v[28:29], 0
	s_and_saveexec_b64 s[2:3], vcc
	s_cbranch_execz .LBB35_11
; %bb.10:                               ;   in Loop: Header=BB35_9 Depth=1
	v_lshl_add_u64 v[28:29], v[4:5], 0, s[8:9]
	v_lshl_add_u64 v[26:27], v[6:7], 0, s[8:9]
	global_load_ushort v3, v[28:29], off
	global_load_ushort v32, v[26:27], off
	v_mov_b32_e32 v29, s11
	v_mov_b32_e32 v27, s11
	s_waitcnt vmcnt(1)
	v_and_b32_e32 v28, 0xffff, v3
	s_waitcnt vmcnt(0)
	v_and_b32_e32 v26, 0xffff, v32
.LBB35_11:                              ;   in Loop: Header=BB35_9 Depth=1
	s_or_b64 exec, exec, s[2:3]
	v_lshl_add_u64 v[32:33], v[20:21], 0, s[18:19]
	v_cmp_gt_u64_e64 s[2:3], s[14:15], v[32:33]
	s_and_saveexec_b64 s[4:5], s[2:3]
	s_cbranch_execz .LBB35_13
; %bb.12:                               ;   in Loop: Header=BB35_9 Depth=1
	v_lshl_add_u64 v[32:33], v[22:23], 0, s[8:9]
	global_load_ushort v3, v[32:33], off
	v_lshl_add_u64 v[32:33], v[24:25], 0, s[8:9]
	global_load_ushort v32, v[32:33], off
	s_waitcnt vmcnt(1)
	v_lshl_or_b32 v28, v3, 16, v28
	s_waitcnt vmcnt(0)
	v_lshl_or_b32 v26, v32, 16, v26
.LBB35_13:                              ;   in Loop: Header=BB35_9 Depth=1
	s_or_b64 exec, exec, s[4:5]
	v_lshl_add_u64 v[32:33], v[18:19], 0, s[18:19]
	v_cmp_gt_u64_e64 s[4:5], s[14:15], v[32:33]
	v_cmp_le_u64_e64 s[6:7], s[14:15], v[32:33]
	s_and_saveexec_b64 s[20:21], s[6:7]
	s_xor_b64 s[6:7], exec, s[20:21]
	s_andn2_saveexec_b64 s[6:7], s[6:7]
	s_cbranch_execz .LBB35_15
; %bb.14:                               ;   in Loop: Header=BB35_9 Depth=1
	v_lshl_add_u64 v[32:33], v[14:15], 0, s[8:9]
	global_load_ushort v3, v[32:33], off
	v_lshl_add_u64 v[32:33], v[16:17], 0, s[8:9]
	global_load_ushort v32, v[32:33], off
	s_waitcnt vmcnt(1)
	v_or_b32_e32 v29, v3, v29
	s_waitcnt vmcnt(0)
	v_or_b32_e32 v27, v32, v27
.LBB35_15:                              ;   in Loop: Header=BB35_9 Depth=1
	s_or_b64 exec, exec, s[6:7]
	v_lshl_add_u64 v[32:33], v[12:13], 0, s[18:19]
	v_cmp_gt_u64_e64 s[6:7], s[14:15], v[32:33]
	s_and_saveexec_b64 s[20:21], s[6:7]
	s_cbranch_execnz .LBB35_20
; %bb.16:                               ;   in Loop: Header=BB35_9 Depth=1
	s_or_b64 exec, exec, s[20:21]
	s_and_saveexec_b64 s[20:21], vcc
	s_cbranch_execnz .LBB35_21
.LBB35_17:                              ;   in Loop: Header=BB35_9 Depth=1
	s_or_b64 exec, exec, s[20:21]
	s_and_saveexec_b64 s[20:21], s[2:3]
	s_cbranch_execnz .LBB35_22
.LBB35_18:                              ;   in Loop: Header=BB35_9 Depth=1
	s_or_b64 exec, exec, s[20:21]
	s_and_saveexec_b64 s[2:3], s[4:5]
	s_cbranch_execnz .LBB35_23
.LBB35_19:                              ;   in Loop: Header=BB35_9 Depth=1
	s_or_b64 exec, exec, s[2:3]
	s_and_saveexec_b64 s[2:3], s[6:7]
	s_cbranch_execz .LBB35_8
	s_branch .LBB35_24
.LBB35_20:                              ;   in Loop: Header=BB35_9 Depth=1
	v_lshl_add_u64 v[32:33], v[8:9], 0, s[8:9]
	global_load_ushort v3, v[32:33], off
	v_lshl_add_u64 v[32:33], v[10:11], 0, s[8:9]
	global_load_ushort v32, v[32:33], off
	s_waitcnt vmcnt(1)
	v_lshlrev_b32_e32 v33, 16, v3
	v_or_b32_e32 v29, v33, v29
	s_waitcnt vmcnt(0)
	v_lshlrev_b32_e32 v3, 16, v32
	v_lshl_add_u64 v[26:27], v[2:3], 0, v[26:27]
	s_or_b64 exec, exec, s[20:21]
	s_and_saveexec_b64 s[20:21], vcc
	s_cbranch_execz .LBB35_17
.LBB35_21:                              ;   in Loop: Header=BB35_9 Depth=1
	v_lshlrev_b32_e32 v3, 16, v26
	v_lshlrev_b32_e32 v32, 16, v28
	v_sub_f32_e32 v33, v3, v32
	v_fmac_f32_e32 v32, s26, v33
	v_fma_f32 v3, -v30, v33, v3
	v_cndmask_b32_e64 v3, v3, v32, s[0:1]
	v_bfe_u32 v32, v3, 16, 1
	v_add3_u32 v34, v3, v32, s22
	v_cmp_o_f32_e32 vcc, v3, v3
	v_lshl_add_u64 v[32:33], v[4:5], 0, s[8:9]
	s_nop 0
	v_cndmask_b32_sdwa v3, v31, v34, vcc dst_sel:DWORD dst_unused:UNUSED_PAD src0_sel:DWORD src1_sel:WORD_1
	global_store_short v[32:33], v3, off
	s_or_b64 exec, exec, s[20:21]
	s_and_saveexec_b64 s[20:21], s[2:3]
	s_cbranch_execz .LBB35_18
.LBB35_22:                              ;   in Loop: Header=BB35_9 Depth=1
	v_and_b32_e32 v3, 0xffff0000, v28
	v_and_b32_e32 v32, 0xffff0000, v26
	v_sub_f32_e32 v33, v32, v3
	v_fmac_f32_e32 v3, s26, v33
	v_fma_f32 v32, -v30, v33, v32
	v_cndmask_b32_e64 v3, v32, v3, s[0:1]
	v_bfe_u32 v32, v3, 16, 1
	v_add3_u32 v32, v3, v32, s22
	v_cmp_o_f32_e32 vcc, v3, v3
	s_nop 1
	v_cndmask_b32_sdwa v3, v31, v32, vcc dst_sel:DWORD dst_unused:UNUSED_PAD src0_sel:DWORD src1_sel:WORD_1
	v_lshl_add_u64 v[32:33], v[22:23], 0, s[8:9]
	global_store_short v[32:33], v3, off
	s_or_b64 exec, exec, s[20:21]
	s_and_saveexec_b64 s[2:3], s[4:5]
	s_cbranch_execz .LBB35_19
.LBB35_23:                              ;   in Loop: Header=BB35_9 Depth=1
	v_alignbit_b32 v3, v29, v28, 16
	v_alignbit_b32 v26, v27, v26, 16
	v_and_b32_e32 v3, 0xffff0000, v3
	v_and_b32_e32 v26, 0xffff0000, v26
	v_sub_f32_e32 v28, v26, v3
	v_fmac_f32_e32 v3, s26, v28
	v_fma_f32 v26, -v30, v28, v26
	v_cndmask_b32_e64 v3, v26, v3, s[0:1]
	v_bfe_u32 v26, v3, 16, 1
	v_add3_u32 v26, v3, v26, s22
	v_cmp_o_f32_e32 vcc, v3, v3
	v_lshl_add_u64 v[32:33], v[14:15], 0, s[8:9]
	s_nop 0
	v_cndmask_b32_sdwa v3, v31, v26, vcc dst_sel:DWORD dst_unused:UNUSED_PAD src0_sel:DWORD src1_sel:WORD_1
	global_store_short v[32:33], v3, off
	s_or_b64 exec, exec, s[2:3]
	s_and_saveexec_b64 s[2:3], s[6:7]
	s_cbranch_execz .LBB35_8
.LBB35_24:                              ;   in Loop: Header=BB35_9 Depth=1
	v_and_b32_e32 v3, 0xffff0000, v29
	v_and_b32_e32 v26, 0xffff0000, v27
	v_sub_f32_e32 v27, v26, v3
	v_fmac_f32_e32 v3, s26, v27
	v_fma_f32 v26, -v30, v27, v26
	v_cndmask_b32_e64 v3, v26, v3, s[0:1]
	v_bfe_u32 v26, v3, 16, 1
	v_add3_u32 v26, v3, v26, s22
	v_cmp_o_f32_e32 vcc, v3, v3
	s_nop 1
	v_cndmask_b32_sdwa v3, v31, v26, vcc dst_sel:DWORD dst_unused:UNUSED_PAD src0_sel:DWORD src1_sel:WORD_1
	v_lshl_add_u64 v[26:27], v[8:9], 0, s[8:9]
	global_store_short v[26:27], v3, off
	s_branch .LBB35_8
.LBB35_25:
	s_endpgm
	.section	.rodata,"a",@progbits
	.p2align	6, 0x0
	.amdhsa_kernel _ZN2at6native12_GLOBAL__N_125multi_tensor_apply_kernelINS1_28TensorListScalarListMetadataIfLi2EEENS1_26TernaryOpScalarListFunctorIN3c108BFloat16ELi2ELi2ELi0EEEJNS0_11LerpFunctorIfEEEEEvT_T0_DpT1_
		.amdhsa_group_segment_fixed_size 0
		.amdhsa_private_segment_fixed_size 0
		.amdhsa_kernarg_size 3656
		.amdhsa_user_sgpr_count 2
		.amdhsa_user_sgpr_dispatch_ptr 0
		.amdhsa_user_sgpr_queue_ptr 0
		.amdhsa_user_sgpr_kernarg_segment_ptr 1
		.amdhsa_user_sgpr_dispatch_id 0
		.amdhsa_user_sgpr_kernarg_preload_length 0
		.amdhsa_user_sgpr_kernarg_preload_offset 0
		.amdhsa_user_sgpr_private_segment_size 0
		.amdhsa_uses_dynamic_stack 0
		.amdhsa_enable_private_segment 0
		.amdhsa_system_sgpr_workgroup_id_x 1
		.amdhsa_system_sgpr_workgroup_id_y 0
		.amdhsa_system_sgpr_workgroup_id_z 0
		.amdhsa_system_sgpr_workgroup_info 0
		.amdhsa_system_vgpr_workitem_id 0
		.amdhsa_next_free_vgpr 35
		.amdhsa_next_free_sgpr 28
		.amdhsa_accum_offset 36
		.amdhsa_reserve_vcc 1
		.amdhsa_float_round_mode_32 0
		.amdhsa_float_round_mode_16_64 0
		.amdhsa_float_denorm_mode_32 3
		.amdhsa_float_denorm_mode_16_64 3
		.amdhsa_dx10_clamp 1
		.amdhsa_ieee_mode 1
		.amdhsa_fp16_overflow 0
		.amdhsa_tg_split 0
		.amdhsa_exception_fp_ieee_invalid_op 0
		.amdhsa_exception_fp_denorm_src 0
		.amdhsa_exception_fp_ieee_div_zero 0
		.amdhsa_exception_fp_ieee_overflow 0
		.amdhsa_exception_fp_ieee_underflow 0
		.amdhsa_exception_fp_ieee_inexact 0
		.amdhsa_exception_int_div_zero 0
	.end_amdhsa_kernel
	.section	.text._ZN2at6native12_GLOBAL__N_125multi_tensor_apply_kernelINS1_28TensorListScalarListMetadataIfLi2EEENS1_26TernaryOpScalarListFunctorIN3c108BFloat16ELi2ELi2ELi0EEEJNS0_11LerpFunctorIfEEEEEvT_T0_DpT1_,"axG",@progbits,_ZN2at6native12_GLOBAL__N_125multi_tensor_apply_kernelINS1_28TensorListScalarListMetadataIfLi2EEENS1_26TernaryOpScalarListFunctorIN3c108BFloat16ELi2ELi2ELi0EEEJNS0_11LerpFunctorIfEEEEEvT_T0_DpT1_,comdat
.Lfunc_end35:
	.size	_ZN2at6native12_GLOBAL__N_125multi_tensor_apply_kernelINS1_28TensorListScalarListMetadataIfLi2EEENS1_26TernaryOpScalarListFunctorIN3c108BFloat16ELi2ELi2ELi0EEEJNS0_11LerpFunctorIfEEEEEvT_T0_DpT1_, .Lfunc_end35-_ZN2at6native12_GLOBAL__N_125multi_tensor_apply_kernelINS1_28TensorListScalarListMetadataIfLi2EEENS1_26TernaryOpScalarListFunctorIN3c108BFloat16ELi2ELi2ELi0EEEJNS0_11LerpFunctorIfEEEEEvT_T0_DpT1_
                                        ; -- End function
	.set _ZN2at6native12_GLOBAL__N_125multi_tensor_apply_kernelINS1_28TensorListScalarListMetadataIfLi2EEENS1_26TernaryOpScalarListFunctorIN3c108BFloat16ELi2ELi2ELi0EEEJNS0_11LerpFunctorIfEEEEEvT_T0_DpT1_.num_vgpr, 35
	.set _ZN2at6native12_GLOBAL__N_125multi_tensor_apply_kernelINS1_28TensorListScalarListMetadataIfLi2EEENS1_26TernaryOpScalarListFunctorIN3c108BFloat16ELi2ELi2ELi0EEEJNS0_11LerpFunctorIfEEEEEvT_T0_DpT1_.num_agpr, 0
	.set _ZN2at6native12_GLOBAL__N_125multi_tensor_apply_kernelINS1_28TensorListScalarListMetadataIfLi2EEENS1_26TernaryOpScalarListFunctorIN3c108BFloat16ELi2ELi2ELi0EEEJNS0_11LerpFunctorIfEEEEEvT_T0_DpT1_.numbered_sgpr, 28
	.set _ZN2at6native12_GLOBAL__N_125multi_tensor_apply_kernelINS1_28TensorListScalarListMetadataIfLi2EEENS1_26TernaryOpScalarListFunctorIN3c108BFloat16ELi2ELi2ELi0EEEJNS0_11LerpFunctorIfEEEEEvT_T0_DpT1_.num_named_barrier, 0
	.set _ZN2at6native12_GLOBAL__N_125multi_tensor_apply_kernelINS1_28TensorListScalarListMetadataIfLi2EEENS1_26TernaryOpScalarListFunctorIN3c108BFloat16ELi2ELi2ELi0EEEJNS0_11LerpFunctorIfEEEEEvT_T0_DpT1_.private_seg_size, 0
	.set _ZN2at6native12_GLOBAL__N_125multi_tensor_apply_kernelINS1_28TensorListScalarListMetadataIfLi2EEENS1_26TernaryOpScalarListFunctorIN3c108BFloat16ELi2ELi2ELi0EEEJNS0_11LerpFunctorIfEEEEEvT_T0_DpT1_.uses_vcc, 1
	.set _ZN2at6native12_GLOBAL__N_125multi_tensor_apply_kernelINS1_28TensorListScalarListMetadataIfLi2EEENS1_26TernaryOpScalarListFunctorIN3c108BFloat16ELi2ELi2ELi0EEEJNS0_11LerpFunctorIfEEEEEvT_T0_DpT1_.uses_flat_scratch, 0
	.set _ZN2at6native12_GLOBAL__N_125multi_tensor_apply_kernelINS1_28TensorListScalarListMetadataIfLi2EEENS1_26TernaryOpScalarListFunctorIN3c108BFloat16ELi2ELi2ELi0EEEJNS0_11LerpFunctorIfEEEEEvT_T0_DpT1_.has_dyn_sized_stack, 0
	.set _ZN2at6native12_GLOBAL__N_125multi_tensor_apply_kernelINS1_28TensorListScalarListMetadataIfLi2EEENS1_26TernaryOpScalarListFunctorIN3c108BFloat16ELi2ELi2ELi0EEEJNS0_11LerpFunctorIfEEEEEvT_T0_DpT1_.has_recursion, 0
	.set _ZN2at6native12_GLOBAL__N_125multi_tensor_apply_kernelINS1_28TensorListScalarListMetadataIfLi2EEENS1_26TernaryOpScalarListFunctorIN3c108BFloat16ELi2ELi2ELi0EEEJNS0_11LerpFunctorIfEEEEEvT_T0_DpT1_.has_indirect_call, 0
	.section	.AMDGPU.csdata,"",@progbits
; Kernel info:
; codeLenInByte = 1980
; TotalNumSgprs: 34
; NumVgprs: 35
; NumAgprs: 0
; TotalNumVgprs: 35
; ScratchSize: 0
; MemoryBound: 0
; FloatMode: 240
; IeeeMode: 1
; LDSByteSize: 0 bytes/workgroup (compile time only)
; SGPRBlocks: 4
; VGPRBlocks: 4
; NumSGPRsForWavesPerEU: 34
; NumVGPRsForWavesPerEU: 35
; AccumOffset: 36
; Occupancy: 8
; WaveLimiterHint : 0
; COMPUTE_PGM_RSRC2:SCRATCH_EN: 0
; COMPUTE_PGM_RSRC2:USER_SGPR: 2
; COMPUTE_PGM_RSRC2:TRAP_HANDLER: 0
; COMPUTE_PGM_RSRC2:TGID_X_EN: 1
; COMPUTE_PGM_RSRC2:TGID_Y_EN: 0
; COMPUTE_PGM_RSRC2:TGID_Z_EN: 0
; COMPUTE_PGM_RSRC2:TIDIG_COMP_CNT: 0
; COMPUTE_PGM_RSRC3_GFX90A:ACCUM_OFFSET: 8
; COMPUTE_PGM_RSRC3_GFX90A:TG_SPLIT: 0
	.section	.AMDGPU.gpr_maximums,"",@progbits
	.set amdgpu.max_num_vgpr, 0
	.set amdgpu.max_num_agpr, 0
	.set amdgpu.max_num_sgpr, 0
	.section	.AMDGPU.csdata,"",@progbits
	.type	__hip_cuid_78aec1b67a5e61db,@object ; @__hip_cuid_78aec1b67a5e61db
	.section	.bss,"aw",@nobits
	.globl	__hip_cuid_78aec1b67a5e61db
__hip_cuid_78aec1b67a5e61db:
	.byte	0                               ; 0x0
	.size	__hip_cuid_78aec1b67a5e61db, 1

	.ident	"AMD clang version 22.0.0git (https://github.com/RadeonOpenCompute/llvm-project roc-7.2.4 26084 f58b06dce1f9c15707c5f808fd002e18c2accf7e)"
	.section	".note.GNU-stack","",@progbits
	.addrsig
	.addrsig_sym __hip_cuid_78aec1b67a5e61db
	.amdgpu_metadata
---
amdhsa.kernels:
  - .agpr_count:     0
    .args:
      - .offset:         0
        .size:           3048
        .value_kind:     by_value
      - .offset:         3048
        .size:           1
        .value_kind:     by_value
      - .offset:         3049
        .size:           1
        .value_kind:     by_value
      - .offset:         3056
        .size:           4
        .value_kind:     hidden_block_count_x
      - .offset:         3060
        .size:           4
        .value_kind:     hidden_block_count_y
      - .offset:         3064
        .size:           4
        .value_kind:     hidden_block_count_z
      - .offset:         3068
        .size:           2
        .value_kind:     hidden_group_size_x
      - .offset:         3070
        .size:           2
        .value_kind:     hidden_group_size_y
      - .offset:         3072
        .size:           2
        .value_kind:     hidden_group_size_z
      - .offset:         3074
        .size:           2
        .value_kind:     hidden_remainder_x
      - .offset:         3076
        .size:           2
        .value_kind:     hidden_remainder_y
      - .offset:         3078
        .size:           2
        .value_kind:     hidden_remainder_z
      - .offset:         3096
        .size:           8
        .value_kind:     hidden_global_offset_x
      - .offset:         3104
        .size:           8
        .value_kind:     hidden_global_offset_y
      - .offset:         3112
        .size:           8
        .value_kind:     hidden_global_offset_z
      - .offset:         3120
        .size:           2
        .value_kind:     hidden_grid_dims
    .group_segment_fixed_size: 0
    .kernarg_segment_align: 8
    .kernarg_segment_size: 3312
    .language:       OpenCL C
    .language_version:
      - 2
      - 0
    .max_flat_workgroup_size: 512
    .name:           _ZN2at6native12_GLOBAL__N_125multi_tensor_apply_kernelINS1_18TensorListMetadataILi4EEENS1_20TernaryOpListFunctorIdLi4ELi3ELi3EEEJNS0_11LerpFunctorIdEEEEEvT_T0_DpT1_
    .private_segment_fixed_size: 0
    .sgpr_count:     44
    .sgpr_spill_count: 0
    .symbol:         _ZN2at6native12_GLOBAL__N_125multi_tensor_apply_kernelINS1_18TensorListMetadataILi4EEENS1_20TernaryOpListFunctorIdLi4ELi3ELi3EEEJNS0_11LerpFunctorIdEEEEEvT_T0_DpT1_.kd
    .uniform_work_group_size: 1
    .uses_dynamic_stack: false
    .vgpr_count:     70
    .vgpr_spill_count: 0
    .wavefront_size: 64
  - .agpr_count:     0
    .args:
      - .offset:         0
        .size:           3048
        .value_kind:     by_value
      - .offset:         3048
        .size:           1
        .value_kind:     by_value
      - .offset:         3049
        .size:           1
        .value_kind:     by_value
      - .offset:         3056
        .size:           4
        .value_kind:     hidden_block_count_x
      - .offset:         3060
        .size:           4
        .value_kind:     hidden_block_count_y
      - .offset:         3064
        .size:           4
        .value_kind:     hidden_block_count_z
      - .offset:         3068
        .size:           2
        .value_kind:     hidden_group_size_x
      - .offset:         3070
        .size:           2
        .value_kind:     hidden_group_size_y
      - .offset:         3072
        .size:           2
        .value_kind:     hidden_group_size_z
      - .offset:         3074
        .size:           2
        .value_kind:     hidden_remainder_x
      - .offset:         3076
        .size:           2
        .value_kind:     hidden_remainder_y
      - .offset:         3078
        .size:           2
        .value_kind:     hidden_remainder_z
      - .offset:         3096
        .size:           8
        .value_kind:     hidden_global_offset_x
      - .offset:         3104
        .size:           8
        .value_kind:     hidden_global_offset_y
      - .offset:         3112
        .size:           8
        .value_kind:     hidden_global_offset_z
      - .offset:         3120
        .size:           2
        .value_kind:     hidden_grid_dims
    .group_segment_fixed_size: 0
    .kernarg_segment_align: 8
    .kernarg_segment_size: 3312
    .language:       OpenCL C
    .language_version:
      - 2
      - 0
    .max_flat_workgroup_size: 512
    .name:           _ZN2at6native12_GLOBAL__N_125multi_tensor_apply_kernelINS1_18TensorListMetadataILi4EEENS1_20TernaryOpListFunctorIfLi4ELi3ELi3EEEJNS0_11LerpFunctorIfEEEEEvT_T0_DpT1_
    .private_segment_fixed_size: 0
    .sgpr_count:     42
    .sgpr_spill_count: 0
    .symbol:         _ZN2at6native12_GLOBAL__N_125multi_tensor_apply_kernelINS1_18TensorListMetadataILi4EEENS1_20TernaryOpListFunctorIfLi4ELi3ELi3EEEJNS0_11LerpFunctorIfEEEEEvT_T0_DpT1_.kd
    .uniform_work_group_size: 1
    .uses_dynamic_stack: false
    .vgpr_count:     58
    .vgpr_spill_count: 0
    .wavefront_size: 64
  - .agpr_count:     0
    .args:
      - .offset:         0
        .size:           3048
        .value_kind:     by_value
      - .offset:         3048
        .size:           1
        .value_kind:     by_value
      - .offset:         3049
        .size:           1
        .value_kind:     by_value
      - .offset:         3056
        .size:           4
        .value_kind:     hidden_block_count_x
      - .offset:         3060
        .size:           4
        .value_kind:     hidden_block_count_y
      - .offset:         3064
        .size:           4
        .value_kind:     hidden_block_count_z
      - .offset:         3068
        .size:           2
        .value_kind:     hidden_group_size_x
      - .offset:         3070
        .size:           2
        .value_kind:     hidden_group_size_y
      - .offset:         3072
        .size:           2
        .value_kind:     hidden_group_size_z
      - .offset:         3074
        .size:           2
        .value_kind:     hidden_remainder_x
      - .offset:         3076
        .size:           2
        .value_kind:     hidden_remainder_y
      - .offset:         3078
        .size:           2
        .value_kind:     hidden_remainder_z
      - .offset:         3096
        .size:           8
        .value_kind:     hidden_global_offset_x
      - .offset:         3104
        .size:           8
        .value_kind:     hidden_global_offset_y
      - .offset:         3112
        .size:           8
        .value_kind:     hidden_global_offset_z
      - .offset:         3120
        .size:           2
        .value_kind:     hidden_grid_dims
    .group_segment_fixed_size: 0
    .kernarg_segment_align: 8
    .kernarg_segment_size: 3312
    .language:       OpenCL C
    .language_version:
      - 2
      - 0
    .max_flat_workgroup_size: 512
    .name:           _ZN2at6native12_GLOBAL__N_125multi_tensor_apply_kernelINS1_18TensorListMetadataILi4EEENS1_20TernaryOpListFunctorIN3c107complexIdEELi4ELi3ELi3EEEJNS0_11LerpFunctorIS8_EEEEEvT_T0_DpT1_
    .private_segment_fixed_size: 0
    .sgpr_count:     42
    .sgpr_spill_count: 0
    .symbol:         _ZN2at6native12_GLOBAL__N_125multi_tensor_apply_kernelINS1_18TensorListMetadataILi4EEENS1_20TernaryOpListFunctorIN3c107complexIdEELi4ELi3ELi3EEEJNS0_11LerpFunctorIS8_EEEEEvT_T0_DpT1_.kd
    .uniform_work_group_size: 1
    .uses_dynamic_stack: false
    .vgpr_count:     66
    .vgpr_spill_count: 0
    .wavefront_size: 64
  - .agpr_count:     0
    .args:
      - .offset:         0
        .size:           3048
        .value_kind:     by_value
      - .offset:         3048
        .size:           1
        .value_kind:     by_value
      - .offset:         3049
        .size:           1
        .value_kind:     by_value
      - .offset:         3056
        .size:           4
        .value_kind:     hidden_block_count_x
      - .offset:         3060
        .size:           4
        .value_kind:     hidden_block_count_y
      - .offset:         3064
        .size:           4
        .value_kind:     hidden_block_count_z
      - .offset:         3068
        .size:           2
        .value_kind:     hidden_group_size_x
      - .offset:         3070
        .size:           2
        .value_kind:     hidden_group_size_y
      - .offset:         3072
        .size:           2
        .value_kind:     hidden_group_size_z
      - .offset:         3074
        .size:           2
        .value_kind:     hidden_remainder_x
      - .offset:         3076
        .size:           2
        .value_kind:     hidden_remainder_y
      - .offset:         3078
        .size:           2
        .value_kind:     hidden_remainder_z
      - .offset:         3096
        .size:           8
        .value_kind:     hidden_global_offset_x
      - .offset:         3104
        .size:           8
        .value_kind:     hidden_global_offset_y
      - .offset:         3112
        .size:           8
        .value_kind:     hidden_global_offset_z
      - .offset:         3120
        .size:           2
        .value_kind:     hidden_grid_dims
    .group_segment_fixed_size: 0
    .kernarg_segment_align: 8
    .kernarg_segment_size: 3312
    .language:       OpenCL C
    .language_version:
      - 2
      - 0
    .max_flat_workgroup_size: 512
    .name:           _ZN2at6native12_GLOBAL__N_125multi_tensor_apply_kernelINS1_18TensorListMetadataILi4EEENS1_20TernaryOpListFunctorIN3c107complexIfEELi4ELi3ELi3EEEJNS0_11LerpFunctorIS8_EEEEEvT_T0_DpT1_
    .private_segment_fixed_size: 0
    .sgpr_count:     41
    .sgpr_spill_count: 0
    .symbol:         _ZN2at6native12_GLOBAL__N_125multi_tensor_apply_kernelINS1_18TensorListMetadataILi4EEENS1_20TernaryOpListFunctorIN3c107complexIfEELi4ELi3ELi3EEEJNS0_11LerpFunctorIS8_EEEEEvT_T0_DpT1_.kd
    .uniform_work_group_size: 1
    .uses_dynamic_stack: false
    .vgpr_count:     68
    .vgpr_spill_count: 0
    .wavefront_size: 64
  - .agpr_count:     0
    .args:
      - .offset:         0
        .size:           3048
        .value_kind:     by_value
      - .offset:         3048
        .size:           1
        .value_kind:     by_value
      - .offset:         3049
        .size:           1
        .value_kind:     by_value
      - .offset:         3056
        .size:           4
        .value_kind:     hidden_block_count_x
      - .offset:         3060
        .size:           4
        .value_kind:     hidden_block_count_y
      - .offset:         3064
        .size:           4
        .value_kind:     hidden_block_count_z
      - .offset:         3068
        .size:           2
        .value_kind:     hidden_group_size_x
      - .offset:         3070
        .size:           2
        .value_kind:     hidden_group_size_y
      - .offset:         3072
        .size:           2
        .value_kind:     hidden_group_size_z
      - .offset:         3074
        .size:           2
        .value_kind:     hidden_remainder_x
      - .offset:         3076
        .size:           2
        .value_kind:     hidden_remainder_y
      - .offset:         3078
        .size:           2
        .value_kind:     hidden_remainder_z
      - .offset:         3096
        .size:           8
        .value_kind:     hidden_global_offset_x
      - .offset:         3104
        .size:           8
        .value_kind:     hidden_global_offset_y
      - .offset:         3112
        .size:           8
        .value_kind:     hidden_global_offset_z
      - .offset:         3120
        .size:           2
        .value_kind:     hidden_grid_dims
    .group_segment_fixed_size: 0
    .kernarg_segment_align: 8
    .kernarg_segment_size: 3312
    .language:       OpenCL C
    .language_version:
      - 2
      - 0
    .max_flat_workgroup_size: 512
    .name:           _ZN2at6native12_GLOBAL__N_125multi_tensor_apply_kernelINS1_18TensorListMetadataILi4EEENS1_20TernaryOpListFunctorIN3c104HalfELi4ELi3ELi3EEEJNS0_11LerpFunctorIfEEEEEvT_T0_DpT1_
    .private_segment_fixed_size: 0
    .sgpr_count:     36
    .sgpr_spill_count: 0
    .symbol:         _ZN2at6native12_GLOBAL__N_125multi_tensor_apply_kernelINS1_18TensorListMetadataILi4EEENS1_20TernaryOpListFunctorIN3c104HalfELi4ELi3ELi3EEEJNS0_11LerpFunctorIfEEEEEvT_T0_DpT1_.kd
    .uniform_work_group_size: 1
    .uses_dynamic_stack: false
    .vgpr_count:     57
    .vgpr_spill_count: 0
    .wavefront_size: 64
  - .agpr_count:     0
    .args:
      - .offset:         0
        .size:           3048
        .value_kind:     by_value
      - .offset:         3048
        .size:           1
        .value_kind:     by_value
      - .offset:         3049
        .size:           1
        .value_kind:     by_value
      - .offset:         3056
        .size:           4
        .value_kind:     hidden_block_count_x
      - .offset:         3060
        .size:           4
        .value_kind:     hidden_block_count_y
      - .offset:         3064
        .size:           4
        .value_kind:     hidden_block_count_z
      - .offset:         3068
        .size:           2
        .value_kind:     hidden_group_size_x
      - .offset:         3070
        .size:           2
        .value_kind:     hidden_group_size_y
      - .offset:         3072
        .size:           2
        .value_kind:     hidden_group_size_z
      - .offset:         3074
        .size:           2
        .value_kind:     hidden_remainder_x
      - .offset:         3076
        .size:           2
        .value_kind:     hidden_remainder_y
      - .offset:         3078
        .size:           2
        .value_kind:     hidden_remainder_z
      - .offset:         3096
        .size:           8
        .value_kind:     hidden_global_offset_x
      - .offset:         3104
        .size:           8
        .value_kind:     hidden_global_offset_y
      - .offset:         3112
        .size:           8
        .value_kind:     hidden_global_offset_z
      - .offset:         3120
        .size:           2
        .value_kind:     hidden_grid_dims
    .group_segment_fixed_size: 0
    .kernarg_segment_align: 8
    .kernarg_segment_size: 3312
    .language:       OpenCL C
    .language_version:
      - 2
      - 0
    .max_flat_workgroup_size: 512
    .name:           _ZN2at6native12_GLOBAL__N_125multi_tensor_apply_kernelINS1_18TensorListMetadataILi4EEENS1_20TernaryOpListFunctorIN3c108BFloat16ELi4ELi3ELi3EEEJNS0_11LerpFunctorIfEEEEEvT_T0_DpT1_
    .private_segment_fixed_size: 0
    .sgpr_count:     35
    .sgpr_spill_count: 0
    .symbol:         _ZN2at6native12_GLOBAL__N_125multi_tensor_apply_kernelINS1_18TensorListMetadataILi4EEENS1_20TernaryOpListFunctorIN3c108BFloat16ELi4ELi3ELi3EEEJNS0_11LerpFunctorIfEEEEEvT_T0_DpT1_.kd
    .uniform_work_group_size: 1
    .uses_dynamic_stack: false
    .vgpr_count:     56
    .vgpr_spill_count: 0
    .wavefront_size: 64
  - .agpr_count:     0
    .args:
      - .offset:         0
        .size:           3144
        .value_kind:     by_value
      - .offset:         3144
        .size:           1
        .value_kind:     by_value
      - .offset:         3145
        .size:           1
        .value_kind:     by_value
      - .offset:         3152
        .size:           4
        .value_kind:     hidden_block_count_x
      - .offset:         3156
        .size:           4
        .value_kind:     hidden_block_count_y
      - .offset:         3160
        .size:           4
        .value_kind:     hidden_block_count_z
      - .offset:         3164
        .size:           2
        .value_kind:     hidden_group_size_x
      - .offset:         3166
        .size:           2
        .value_kind:     hidden_group_size_y
      - .offset:         3168
        .size:           2
        .value_kind:     hidden_group_size_z
      - .offset:         3170
        .size:           2
        .value_kind:     hidden_remainder_x
      - .offset:         3172
        .size:           2
        .value_kind:     hidden_remainder_y
      - .offset:         3174
        .size:           2
        .value_kind:     hidden_remainder_z
      - .offset:         3192
        .size:           8
        .value_kind:     hidden_global_offset_x
      - .offset:         3200
        .size:           8
        .value_kind:     hidden_global_offset_y
      - .offset:         3208
        .size:           8
        .value_kind:     hidden_global_offset_z
      - .offset:         3216
        .size:           2
        .value_kind:     hidden_grid_dims
    .group_segment_fixed_size: 0
    .kernarg_segment_align: 8
    .kernarg_segment_size: 3408
    .language:       OpenCL C
    .language_version:
      - 2
      - 0
    .max_flat_workgroup_size: 512
    .name:           _ZN2at6native12_GLOBAL__N_125multi_tensor_apply_kernelINS1_18TensorListMetadataILi3EEENS1_20TernaryOpListFunctorIdLi3ELi3ELi0EEEJNS0_11LerpFunctorIdEEEEEvT_T0_DpT1_
    .private_segment_fixed_size: 0
    .sgpr_count:     40
    .sgpr_spill_count: 0
    .symbol:         _ZN2at6native12_GLOBAL__N_125multi_tensor_apply_kernelINS1_18TensorListMetadataILi3EEENS1_20TernaryOpListFunctorIdLi3ELi3ELi0EEEJNS0_11LerpFunctorIdEEEEEvT_T0_DpT1_.kd
    .uniform_work_group_size: 1
    .uses_dynamic_stack: false
    .vgpr_count:     62
    .vgpr_spill_count: 0
    .wavefront_size: 64
  - .agpr_count:     0
    .args:
      - .offset:         0
        .size:           3144
        .value_kind:     by_value
      - .offset:         3144
        .size:           1
        .value_kind:     by_value
      - .offset:         3145
        .size:           1
        .value_kind:     by_value
      - .offset:         3152
        .size:           4
        .value_kind:     hidden_block_count_x
      - .offset:         3156
        .size:           4
        .value_kind:     hidden_block_count_y
      - .offset:         3160
        .size:           4
        .value_kind:     hidden_block_count_z
      - .offset:         3164
        .size:           2
        .value_kind:     hidden_group_size_x
      - .offset:         3166
        .size:           2
        .value_kind:     hidden_group_size_y
      - .offset:         3168
        .size:           2
        .value_kind:     hidden_group_size_z
      - .offset:         3170
        .size:           2
        .value_kind:     hidden_remainder_x
      - .offset:         3172
        .size:           2
        .value_kind:     hidden_remainder_y
      - .offset:         3174
        .size:           2
        .value_kind:     hidden_remainder_z
      - .offset:         3192
        .size:           8
        .value_kind:     hidden_global_offset_x
      - .offset:         3200
        .size:           8
        .value_kind:     hidden_global_offset_y
      - .offset:         3208
        .size:           8
        .value_kind:     hidden_global_offset_z
      - .offset:         3216
        .size:           2
        .value_kind:     hidden_grid_dims
    .group_segment_fixed_size: 0
    .kernarg_segment_align: 8
    .kernarg_segment_size: 3408
    .language:       OpenCL C
    .language_version:
      - 2
      - 0
    .max_flat_workgroup_size: 512
    .name:           _ZN2at6native12_GLOBAL__N_125multi_tensor_apply_kernelINS1_18TensorListMetadataILi3EEENS1_20TernaryOpListFunctorIfLi3ELi3ELi0EEEJNS0_11LerpFunctorIfEEEEEvT_T0_DpT1_
    .private_segment_fixed_size: 0
    .sgpr_count:     38
    .sgpr_spill_count: 0
    .symbol:         _ZN2at6native12_GLOBAL__N_125multi_tensor_apply_kernelINS1_18TensorListMetadataILi3EEENS1_20TernaryOpListFunctorIfLi3ELi3ELi0EEEJNS0_11LerpFunctorIfEEEEEvT_T0_DpT1_.kd
    .uniform_work_group_size: 1
    .uses_dynamic_stack: false
    .vgpr_count:     50
    .vgpr_spill_count: 0
    .wavefront_size: 64
  - .agpr_count:     0
    .args:
      - .offset:         0
        .size:           3144
        .value_kind:     by_value
      - .offset:         3144
        .size:           1
        .value_kind:     by_value
      - .offset:         3145
        .size:           1
        .value_kind:     by_value
      - .offset:         3152
        .size:           4
        .value_kind:     hidden_block_count_x
      - .offset:         3156
        .size:           4
        .value_kind:     hidden_block_count_y
      - .offset:         3160
        .size:           4
        .value_kind:     hidden_block_count_z
      - .offset:         3164
        .size:           2
        .value_kind:     hidden_group_size_x
      - .offset:         3166
        .size:           2
        .value_kind:     hidden_group_size_y
      - .offset:         3168
        .size:           2
        .value_kind:     hidden_group_size_z
      - .offset:         3170
        .size:           2
        .value_kind:     hidden_remainder_x
      - .offset:         3172
        .size:           2
        .value_kind:     hidden_remainder_y
      - .offset:         3174
        .size:           2
        .value_kind:     hidden_remainder_z
      - .offset:         3192
        .size:           8
        .value_kind:     hidden_global_offset_x
      - .offset:         3200
        .size:           8
        .value_kind:     hidden_global_offset_y
      - .offset:         3208
        .size:           8
        .value_kind:     hidden_global_offset_z
      - .offset:         3216
        .size:           2
        .value_kind:     hidden_grid_dims
    .group_segment_fixed_size: 0
    .kernarg_segment_align: 8
    .kernarg_segment_size: 3408
    .language:       OpenCL C
    .language_version:
      - 2
      - 0
    .max_flat_workgroup_size: 512
    .name:           _ZN2at6native12_GLOBAL__N_125multi_tensor_apply_kernelINS1_18TensorListMetadataILi3EEENS1_20TernaryOpListFunctorIN3c107complexIdEELi3ELi3ELi0EEEJNS0_11LerpFunctorIS8_EEEEEvT_T0_DpT1_
    .private_segment_fixed_size: 0
    .sgpr_count:     38
    .sgpr_spill_count: 0
    .symbol:         _ZN2at6native12_GLOBAL__N_125multi_tensor_apply_kernelINS1_18TensorListMetadataILi3EEENS1_20TernaryOpListFunctorIN3c107complexIdEELi3ELi3ELi0EEEJNS0_11LerpFunctorIS8_EEEEEvT_T0_DpT1_.kd
    .uniform_work_group_size: 1
    .uses_dynamic_stack: false
    .vgpr_count:     66
    .vgpr_spill_count: 0
    .wavefront_size: 64
  - .agpr_count:     0
    .args:
      - .offset:         0
        .size:           3144
        .value_kind:     by_value
      - .offset:         3144
        .size:           1
        .value_kind:     by_value
      - .offset:         3145
        .size:           1
        .value_kind:     by_value
      - .offset:         3152
        .size:           4
        .value_kind:     hidden_block_count_x
      - .offset:         3156
        .size:           4
        .value_kind:     hidden_block_count_y
      - .offset:         3160
        .size:           4
        .value_kind:     hidden_block_count_z
      - .offset:         3164
        .size:           2
        .value_kind:     hidden_group_size_x
      - .offset:         3166
        .size:           2
        .value_kind:     hidden_group_size_y
      - .offset:         3168
        .size:           2
        .value_kind:     hidden_group_size_z
      - .offset:         3170
        .size:           2
        .value_kind:     hidden_remainder_x
      - .offset:         3172
        .size:           2
        .value_kind:     hidden_remainder_y
      - .offset:         3174
        .size:           2
        .value_kind:     hidden_remainder_z
      - .offset:         3192
        .size:           8
        .value_kind:     hidden_global_offset_x
      - .offset:         3200
        .size:           8
        .value_kind:     hidden_global_offset_y
      - .offset:         3208
        .size:           8
        .value_kind:     hidden_global_offset_z
      - .offset:         3216
        .size:           2
        .value_kind:     hidden_grid_dims
    .group_segment_fixed_size: 0
    .kernarg_segment_align: 8
    .kernarg_segment_size: 3408
    .language:       OpenCL C
    .language_version:
      - 2
      - 0
    .max_flat_workgroup_size: 512
    .name:           _ZN2at6native12_GLOBAL__N_125multi_tensor_apply_kernelINS1_18TensorListMetadataILi3EEENS1_20TernaryOpListFunctorIN3c107complexIfEELi3ELi3ELi0EEEJNS0_11LerpFunctorIS8_EEEEEvT_T0_DpT1_
    .private_segment_fixed_size: 0
    .sgpr_count:     36
    .sgpr_spill_count: 0
    .symbol:         _ZN2at6native12_GLOBAL__N_125multi_tensor_apply_kernelINS1_18TensorListMetadataILi3EEENS1_20TernaryOpListFunctorIN3c107complexIfEELi3ELi3ELi0EEEJNS0_11LerpFunctorIS8_EEEEEvT_T0_DpT1_.kd
    .uniform_work_group_size: 1
    .uses_dynamic_stack: false
    .vgpr_count:     60
    .vgpr_spill_count: 0
    .wavefront_size: 64
  - .agpr_count:     0
    .args:
      - .offset:         0
        .size:           3144
        .value_kind:     by_value
      - .offset:         3144
        .size:           1
        .value_kind:     by_value
      - .offset:         3145
        .size:           1
        .value_kind:     by_value
      - .offset:         3152
        .size:           4
        .value_kind:     hidden_block_count_x
      - .offset:         3156
        .size:           4
        .value_kind:     hidden_block_count_y
      - .offset:         3160
        .size:           4
        .value_kind:     hidden_block_count_z
      - .offset:         3164
        .size:           2
        .value_kind:     hidden_group_size_x
      - .offset:         3166
        .size:           2
        .value_kind:     hidden_group_size_y
      - .offset:         3168
        .size:           2
        .value_kind:     hidden_group_size_z
      - .offset:         3170
        .size:           2
        .value_kind:     hidden_remainder_x
      - .offset:         3172
        .size:           2
        .value_kind:     hidden_remainder_y
      - .offset:         3174
        .size:           2
        .value_kind:     hidden_remainder_z
      - .offset:         3192
        .size:           8
        .value_kind:     hidden_global_offset_x
      - .offset:         3200
        .size:           8
        .value_kind:     hidden_global_offset_y
      - .offset:         3208
        .size:           8
        .value_kind:     hidden_global_offset_z
      - .offset:         3216
        .size:           2
        .value_kind:     hidden_grid_dims
    .group_segment_fixed_size: 0
    .kernarg_segment_align: 8
    .kernarg_segment_size: 3408
    .language:       OpenCL C
    .language_version:
      - 2
      - 0
    .max_flat_workgroup_size: 512
    .name:           _ZN2at6native12_GLOBAL__N_125multi_tensor_apply_kernelINS1_18TensorListMetadataILi3EEENS1_20TernaryOpListFunctorIN3c104HalfELi3ELi3ELi0EEEJNS0_11LerpFunctorIfEEEEEvT_T0_DpT1_
    .private_segment_fixed_size: 0
    .sgpr_count:     34
    .sgpr_spill_count: 0
    .symbol:         _ZN2at6native12_GLOBAL__N_125multi_tensor_apply_kernelINS1_18TensorListMetadataILi3EEENS1_20TernaryOpListFunctorIN3c104HalfELi3ELi3ELi0EEEJNS0_11LerpFunctorIfEEEEEvT_T0_DpT1_.kd
    .uniform_work_group_size: 1
    .uses_dynamic_stack: false
    .vgpr_count:     49
    .vgpr_spill_count: 0
    .wavefront_size: 64
  - .agpr_count:     0
    .args:
      - .offset:         0
        .size:           3144
        .value_kind:     by_value
      - .offset:         3144
        .size:           1
        .value_kind:     by_value
      - .offset:         3145
        .size:           1
        .value_kind:     by_value
      - .offset:         3152
        .size:           4
        .value_kind:     hidden_block_count_x
      - .offset:         3156
        .size:           4
        .value_kind:     hidden_block_count_y
      - .offset:         3160
        .size:           4
        .value_kind:     hidden_block_count_z
      - .offset:         3164
        .size:           2
        .value_kind:     hidden_group_size_x
      - .offset:         3166
        .size:           2
        .value_kind:     hidden_group_size_y
      - .offset:         3168
        .size:           2
        .value_kind:     hidden_group_size_z
      - .offset:         3170
        .size:           2
        .value_kind:     hidden_remainder_x
      - .offset:         3172
        .size:           2
        .value_kind:     hidden_remainder_y
      - .offset:         3174
        .size:           2
        .value_kind:     hidden_remainder_z
      - .offset:         3192
        .size:           8
        .value_kind:     hidden_global_offset_x
      - .offset:         3200
        .size:           8
        .value_kind:     hidden_global_offset_y
      - .offset:         3208
        .size:           8
        .value_kind:     hidden_global_offset_z
      - .offset:         3216
        .size:           2
        .value_kind:     hidden_grid_dims
    .group_segment_fixed_size: 0
    .kernarg_segment_align: 8
    .kernarg_segment_size: 3408
    .language:       OpenCL C
    .language_version:
      - 2
      - 0
    .max_flat_workgroup_size: 512
    .name:           _ZN2at6native12_GLOBAL__N_125multi_tensor_apply_kernelINS1_18TensorListMetadataILi3EEENS1_20TernaryOpListFunctorIN3c108BFloat16ELi3ELi3ELi0EEEJNS0_11LerpFunctorIfEEEEEvT_T0_DpT1_
    .private_segment_fixed_size: 0
    .sgpr_count:     33
    .sgpr_spill_count: 0
    .symbol:         _ZN2at6native12_GLOBAL__N_125multi_tensor_apply_kernelINS1_18TensorListMetadataILi3EEENS1_20TernaryOpListFunctorIN3c108BFloat16ELi3ELi3ELi0EEEJNS0_11LerpFunctorIfEEEEEvT_T0_DpT1_.kd
    .uniform_work_group_size: 1
    .uses_dynamic_stack: false
    .vgpr_count:     48
    .vgpr_spill_count: 0
    .wavefront_size: 64
  - .agpr_count:     0
    .args:
      - .offset:         0
        .size:           3144
        .value_kind:     by_value
      - .offset:         3144
        .size:           1
        .value_kind:     by_value
      - .offset:         3145
        .size:           1
        .value_kind:     by_value
      - .offset:         3152
        .size:           8
        .value_kind:     by_value
      - .offset:         3160
        .size:           4
        .value_kind:     hidden_block_count_x
      - .offset:         3164
        .size:           4
        .value_kind:     hidden_block_count_y
      - .offset:         3168
        .size:           4
        .value_kind:     hidden_block_count_z
      - .offset:         3172
        .size:           2
        .value_kind:     hidden_group_size_x
      - .offset:         3174
        .size:           2
        .value_kind:     hidden_group_size_y
      - .offset:         3176
        .size:           2
        .value_kind:     hidden_group_size_z
      - .offset:         3178
        .size:           2
        .value_kind:     hidden_remainder_x
      - .offset:         3180
        .size:           2
        .value_kind:     hidden_remainder_y
      - .offset:         3182
        .size:           2
        .value_kind:     hidden_remainder_z
      - .offset:         3200
        .size:           8
        .value_kind:     hidden_global_offset_x
      - .offset:         3208
        .size:           8
        .value_kind:     hidden_global_offset_y
      - .offset:         3216
        .size:           8
        .value_kind:     hidden_global_offset_z
      - .offset:         3224
        .size:           2
        .value_kind:     hidden_grid_dims
    .group_segment_fixed_size: 0
    .kernarg_segment_align: 8
    .kernarg_segment_size: 3416
    .language:       OpenCL C
    .language_version:
      - 2
      - 0
    .max_flat_workgroup_size: 512
    .name:           _ZN2at6native12_GLOBAL__N_125multi_tensor_apply_kernelINS1_18TensorListMetadataILi3EEENS1_22TernaryOpScalarFunctorIdLi3ELi2ELi2EEEJNS0_11LerpFunctorIdEEdEEEvT_T0_DpT1_
    .private_segment_fixed_size: 0
    .sgpr_count:     37
    .sgpr_spill_count: 0
    .symbol:         _ZN2at6native12_GLOBAL__N_125multi_tensor_apply_kernelINS1_18TensorListMetadataILi3EEENS1_22TernaryOpScalarFunctorIdLi3ELi2ELi2EEEJNS0_11LerpFunctorIdEEdEEEvT_T0_DpT1_.kd
    .uniform_work_group_size: 1
    .uses_dynamic_stack: false
    .vgpr_count:     54
    .vgpr_spill_count: 0
    .wavefront_size: 64
  - .agpr_count:     0
    .args:
      - .offset:         0
        .size:           3144
        .value_kind:     by_value
      - .offset:         3144
        .size:           1
        .value_kind:     by_value
      - .offset:         3145
        .size:           1
        .value_kind:     by_value
      - .offset:         3148
        .size:           4
        .value_kind:     by_value
      - .offset:         3152
        .size:           4
        .value_kind:     hidden_block_count_x
      - .offset:         3156
        .size:           4
        .value_kind:     hidden_block_count_y
      - .offset:         3160
        .size:           4
        .value_kind:     hidden_block_count_z
      - .offset:         3164
        .size:           2
        .value_kind:     hidden_group_size_x
      - .offset:         3166
        .size:           2
        .value_kind:     hidden_group_size_y
      - .offset:         3168
        .size:           2
        .value_kind:     hidden_group_size_z
      - .offset:         3170
        .size:           2
        .value_kind:     hidden_remainder_x
      - .offset:         3172
        .size:           2
        .value_kind:     hidden_remainder_y
      - .offset:         3174
        .size:           2
        .value_kind:     hidden_remainder_z
      - .offset:         3192
        .size:           8
        .value_kind:     hidden_global_offset_x
      - .offset:         3200
        .size:           8
        .value_kind:     hidden_global_offset_y
      - .offset:         3208
        .size:           8
        .value_kind:     hidden_global_offset_z
      - .offset:         3216
        .size:           2
        .value_kind:     hidden_grid_dims
    .group_segment_fixed_size: 0
    .kernarg_segment_align: 8
    .kernarg_segment_size: 3408
    .language:       OpenCL C
    .language_version:
      - 2
      - 0
    .max_flat_workgroup_size: 512
    .name:           _ZN2at6native12_GLOBAL__N_125multi_tensor_apply_kernelINS1_18TensorListMetadataILi3EEENS1_22TernaryOpScalarFunctorIfLi3ELi2ELi2EEEJNS0_11LerpFunctorIfEEfEEEvT_T0_DpT1_
    .private_segment_fixed_size: 0
    .sgpr_count:     36
    .sgpr_spill_count: 0
    .symbol:         _ZN2at6native12_GLOBAL__N_125multi_tensor_apply_kernelINS1_18TensorListMetadataILi3EEENS1_22TernaryOpScalarFunctorIfLi3ELi2ELi2EEEJNS0_11LerpFunctorIfEEfEEEvT_T0_DpT1_.kd
    .uniform_work_group_size: 1
    .uses_dynamic_stack: false
    .vgpr_count:     46
    .vgpr_spill_count: 0
    .wavefront_size: 64
  - .agpr_count:     0
    .args:
      - .offset:         0
        .size:           3144
        .value_kind:     by_value
      - .offset:         3144
        .size:           1
        .value_kind:     by_value
      - .offset:         3145
        .size:           1
        .value_kind:     by_value
      - .offset:         3152
        .size:           16
        .value_kind:     by_value
      - .offset:         3168
        .size:           4
        .value_kind:     hidden_block_count_x
      - .offset:         3172
        .size:           4
        .value_kind:     hidden_block_count_y
      - .offset:         3176
        .size:           4
        .value_kind:     hidden_block_count_z
      - .offset:         3180
        .size:           2
        .value_kind:     hidden_group_size_x
      - .offset:         3182
        .size:           2
        .value_kind:     hidden_group_size_y
      - .offset:         3184
        .size:           2
        .value_kind:     hidden_group_size_z
      - .offset:         3186
        .size:           2
        .value_kind:     hidden_remainder_x
      - .offset:         3188
        .size:           2
        .value_kind:     hidden_remainder_y
      - .offset:         3190
        .size:           2
        .value_kind:     hidden_remainder_z
      - .offset:         3208
        .size:           8
        .value_kind:     hidden_global_offset_x
      - .offset:         3216
        .size:           8
        .value_kind:     hidden_global_offset_y
      - .offset:         3224
        .size:           8
        .value_kind:     hidden_global_offset_z
      - .offset:         3232
        .size:           2
        .value_kind:     hidden_grid_dims
    .group_segment_fixed_size: 0
    .kernarg_segment_align: 16
    .kernarg_segment_size: 3424
    .language:       OpenCL C
    .language_version:
      - 2
      - 0
    .max_flat_workgroup_size: 512
    .name:           _ZN2at6native12_GLOBAL__N_125multi_tensor_apply_kernelINS1_18TensorListMetadataILi3EEENS1_22TernaryOpScalarFunctorIN3c107complexIdEELi3ELi2ELi2EEEJNS0_11LerpFunctorIS8_EES8_EEEvT_T0_DpT1_
    .private_segment_fixed_size: 0
    .sgpr_count:     44
    .sgpr_spill_count: 0
    .symbol:         _ZN2at6native12_GLOBAL__N_125multi_tensor_apply_kernelINS1_18TensorListMetadataILi3EEENS1_22TernaryOpScalarFunctorIN3c107complexIdEELi3ELi2ELi2EEEJNS0_11LerpFunctorIS8_EES8_EEEvT_T0_DpT1_.kd
    .uniform_work_group_size: 1
    .uses_dynamic_stack: false
    .vgpr_count:     54
    .vgpr_spill_count: 0
    .wavefront_size: 64
  - .agpr_count:     0
    .args:
      - .offset:         0
        .size:           3144
        .value_kind:     by_value
      - .offset:         3144
        .size:           1
        .value_kind:     by_value
      - .offset:         3145
        .size:           1
        .value_kind:     by_value
      - .offset:         3152
        .size:           8
        .value_kind:     by_value
      - .offset:         3160
        .size:           4
        .value_kind:     hidden_block_count_x
      - .offset:         3164
        .size:           4
        .value_kind:     hidden_block_count_y
      - .offset:         3168
        .size:           4
        .value_kind:     hidden_block_count_z
      - .offset:         3172
        .size:           2
        .value_kind:     hidden_group_size_x
      - .offset:         3174
        .size:           2
        .value_kind:     hidden_group_size_y
      - .offset:         3176
        .size:           2
        .value_kind:     hidden_group_size_z
      - .offset:         3178
        .size:           2
        .value_kind:     hidden_remainder_x
      - .offset:         3180
        .size:           2
        .value_kind:     hidden_remainder_y
      - .offset:         3182
        .size:           2
        .value_kind:     hidden_remainder_z
      - .offset:         3200
        .size:           8
        .value_kind:     hidden_global_offset_x
      - .offset:         3208
        .size:           8
        .value_kind:     hidden_global_offset_y
      - .offset:         3216
        .size:           8
        .value_kind:     hidden_global_offset_z
      - .offset:         3224
        .size:           2
        .value_kind:     hidden_grid_dims
    .group_segment_fixed_size: 0
    .kernarg_segment_align: 8
    .kernarg_segment_size: 3416
    .language:       OpenCL C
    .language_version:
      - 2
      - 0
    .max_flat_workgroup_size: 512
    .name:           _ZN2at6native12_GLOBAL__N_125multi_tensor_apply_kernelINS1_18TensorListMetadataILi3EEENS1_22TernaryOpScalarFunctorIN3c107complexIfEELi3ELi2ELi2EEEJNS0_11LerpFunctorIS8_EES8_EEEvT_T0_DpT1_
    .private_segment_fixed_size: 0
    .sgpr_count:     44
    .sgpr_spill_count: 0
    .symbol:         _ZN2at6native12_GLOBAL__N_125multi_tensor_apply_kernelINS1_18TensorListMetadataILi3EEENS1_22TernaryOpScalarFunctorIN3c107complexIfEELi3ELi2ELi2EEEJNS0_11LerpFunctorIS8_EES8_EEEvT_T0_DpT1_.kd
    .uniform_work_group_size: 1
    .uses_dynamic_stack: false
    .vgpr_count:     58
    .vgpr_spill_count: 0
    .wavefront_size: 64
  - .agpr_count:     0
    .args:
      - .offset:         0
        .size:           3144
        .value_kind:     by_value
      - .offset:         3144
        .size:           1
        .value_kind:     by_value
      - .offset:         3145
        .size:           1
        .value_kind:     by_value
      - .offset:         3148
        .size:           4
        .value_kind:     by_value
      - .offset:         3152
        .size:           4
        .value_kind:     hidden_block_count_x
      - .offset:         3156
        .size:           4
        .value_kind:     hidden_block_count_y
      - .offset:         3160
        .size:           4
        .value_kind:     hidden_block_count_z
      - .offset:         3164
        .size:           2
        .value_kind:     hidden_group_size_x
      - .offset:         3166
        .size:           2
        .value_kind:     hidden_group_size_y
      - .offset:         3168
        .size:           2
        .value_kind:     hidden_group_size_z
      - .offset:         3170
        .size:           2
        .value_kind:     hidden_remainder_x
      - .offset:         3172
        .size:           2
        .value_kind:     hidden_remainder_y
      - .offset:         3174
        .size:           2
        .value_kind:     hidden_remainder_z
      - .offset:         3192
        .size:           8
        .value_kind:     hidden_global_offset_x
      - .offset:         3200
        .size:           8
        .value_kind:     hidden_global_offset_y
      - .offset:         3208
        .size:           8
        .value_kind:     hidden_global_offset_z
      - .offset:         3216
        .size:           2
        .value_kind:     hidden_grid_dims
    .group_segment_fixed_size: 0
    .kernarg_segment_align: 8
    .kernarg_segment_size: 3408
    .language:       OpenCL C
    .language_version:
      - 2
      - 0
    .max_flat_workgroup_size: 512
    .name:           _ZN2at6native12_GLOBAL__N_125multi_tensor_apply_kernelINS1_18TensorListMetadataILi3EEENS1_22TernaryOpScalarFunctorIN3c104HalfELi3ELi2ELi2EEEJNS0_11LerpFunctorIfEEfEEEvT_T0_DpT1_
    .private_segment_fixed_size: 0
    .sgpr_count:     34
    .sgpr_spill_count: 0
    .symbol:         _ZN2at6native12_GLOBAL__N_125multi_tensor_apply_kernelINS1_18TensorListMetadataILi3EEENS1_22TernaryOpScalarFunctorIN3c104HalfELi3ELi2ELi2EEEJNS0_11LerpFunctorIfEEfEEEvT_T0_DpT1_.kd
    .uniform_work_group_size: 1
    .uses_dynamic_stack: false
    .vgpr_count:     45
    .vgpr_spill_count: 0
    .wavefront_size: 64
  - .agpr_count:     0
    .args:
      - .offset:         0
        .size:           3144
        .value_kind:     by_value
      - .offset:         3144
        .size:           1
        .value_kind:     by_value
      - .offset:         3145
        .size:           1
        .value_kind:     by_value
      - .offset:         3148
        .size:           4
        .value_kind:     by_value
      - .offset:         3152
        .size:           4
        .value_kind:     hidden_block_count_x
      - .offset:         3156
        .size:           4
        .value_kind:     hidden_block_count_y
      - .offset:         3160
        .size:           4
        .value_kind:     hidden_block_count_z
      - .offset:         3164
        .size:           2
        .value_kind:     hidden_group_size_x
      - .offset:         3166
        .size:           2
        .value_kind:     hidden_group_size_y
      - .offset:         3168
        .size:           2
        .value_kind:     hidden_group_size_z
      - .offset:         3170
        .size:           2
        .value_kind:     hidden_remainder_x
      - .offset:         3172
        .size:           2
        .value_kind:     hidden_remainder_y
      - .offset:         3174
        .size:           2
        .value_kind:     hidden_remainder_z
      - .offset:         3192
        .size:           8
        .value_kind:     hidden_global_offset_x
      - .offset:         3200
        .size:           8
        .value_kind:     hidden_global_offset_y
      - .offset:         3208
        .size:           8
        .value_kind:     hidden_global_offset_z
      - .offset:         3216
        .size:           2
        .value_kind:     hidden_grid_dims
    .group_segment_fixed_size: 0
    .kernarg_segment_align: 8
    .kernarg_segment_size: 3408
    .language:       OpenCL C
    .language_version:
      - 2
      - 0
    .max_flat_workgroup_size: 512
    .name:           _ZN2at6native12_GLOBAL__N_125multi_tensor_apply_kernelINS1_18TensorListMetadataILi3EEENS1_22TernaryOpScalarFunctorIN3c108BFloat16ELi3ELi2ELi2EEEJNS0_11LerpFunctorIfEEfEEEvT_T0_DpT1_
    .private_segment_fixed_size: 0
    .sgpr_count:     36
    .sgpr_spill_count: 0
    .symbol:         _ZN2at6native12_GLOBAL__N_125multi_tensor_apply_kernelINS1_18TensorListMetadataILi3EEENS1_22TernaryOpScalarFunctorIN3c108BFloat16ELi3ELi2ELi2EEEJNS0_11LerpFunctorIfEEfEEEvT_T0_DpT1_.kd
    .uniform_work_group_size: 1
    .uses_dynamic_stack: false
    .vgpr_count:     43
    .vgpr_spill_count: 0
    .wavefront_size: 64
  - .agpr_count:     0
    .args:
      - .offset:         0
        .size:           3144
        .value_kind:     by_value
      - .offset:         3144
        .size:           1
        .value_kind:     by_value
      - .offset:         3145
        .size:           1
        .value_kind:     by_value
      - .offset:         3152
        .size:           8
        .value_kind:     by_value
      - .offset:         3160
        .size:           4
        .value_kind:     hidden_block_count_x
      - .offset:         3164
        .size:           4
        .value_kind:     hidden_block_count_y
      - .offset:         3168
        .size:           4
        .value_kind:     hidden_block_count_z
      - .offset:         3172
        .size:           2
        .value_kind:     hidden_group_size_x
      - .offset:         3174
        .size:           2
        .value_kind:     hidden_group_size_y
      - .offset:         3176
        .size:           2
        .value_kind:     hidden_group_size_z
      - .offset:         3178
        .size:           2
        .value_kind:     hidden_remainder_x
      - .offset:         3180
        .size:           2
        .value_kind:     hidden_remainder_y
      - .offset:         3182
        .size:           2
        .value_kind:     hidden_remainder_z
      - .offset:         3200
        .size:           8
        .value_kind:     hidden_global_offset_x
      - .offset:         3208
        .size:           8
        .value_kind:     hidden_global_offset_y
      - .offset:         3216
        .size:           8
        .value_kind:     hidden_global_offset_z
      - .offset:         3224
        .size:           2
        .value_kind:     hidden_grid_dims
    .group_segment_fixed_size: 0
    .kernarg_segment_align: 8
    .kernarg_segment_size: 3416
    .language:       OpenCL C
    .language_version:
      - 2
      - 0
    .max_flat_workgroup_size: 512
    .name:           _ZN2at6native12_GLOBAL__N_125multi_tensor_apply_kernelINS1_18TensorListMetadataILi2EEENS1_22TernaryOpScalarFunctorIdLi2ELi2ELi0EEEJNS0_11LerpFunctorIdEEdEEEvT_T0_DpT1_
    .private_segment_fixed_size: 0
    .sgpr_count:     32
    .sgpr_spill_count: 0
    .symbol:         _ZN2at6native12_GLOBAL__N_125multi_tensor_apply_kernelINS1_18TensorListMetadataILi2EEENS1_22TernaryOpScalarFunctorIdLi2ELi2ELi0EEEJNS0_11LerpFunctorIdEEdEEEvT_T0_DpT1_.kd
    .uniform_work_group_size: 1
    .uses_dynamic_stack: false
    .vgpr_count:     46
    .vgpr_spill_count: 0
    .wavefront_size: 64
  - .agpr_count:     0
    .args:
      - .offset:         0
        .size:           3144
        .value_kind:     by_value
      - .offset:         3144
        .size:           1
        .value_kind:     by_value
      - .offset:         3145
        .size:           1
        .value_kind:     by_value
      - .offset:         3148
        .size:           4
        .value_kind:     by_value
      - .offset:         3152
        .size:           4
        .value_kind:     hidden_block_count_x
      - .offset:         3156
        .size:           4
        .value_kind:     hidden_block_count_y
      - .offset:         3160
        .size:           4
        .value_kind:     hidden_block_count_z
      - .offset:         3164
        .size:           2
        .value_kind:     hidden_group_size_x
      - .offset:         3166
        .size:           2
        .value_kind:     hidden_group_size_y
      - .offset:         3168
        .size:           2
        .value_kind:     hidden_group_size_z
      - .offset:         3170
        .size:           2
        .value_kind:     hidden_remainder_x
      - .offset:         3172
        .size:           2
        .value_kind:     hidden_remainder_y
      - .offset:         3174
        .size:           2
        .value_kind:     hidden_remainder_z
      - .offset:         3192
        .size:           8
        .value_kind:     hidden_global_offset_x
      - .offset:         3200
        .size:           8
        .value_kind:     hidden_global_offset_y
      - .offset:         3208
        .size:           8
        .value_kind:     hidden_global_offset_z
      - .offset:         3216
        .size:           2
        .value_kind:     hidden_grid_dims
    .group_segment_fixed_size: 0
    .kernarg_segment_align: 8
    .kernarg_segment_size: 3408
    .language:       OpenCL C
    .language_version:
      - 2
      - 0
    .max_flat_workgroup_size: 512
    .name:           _ZN2at6native12_GLOBAL__N_125multi_tensor_apply_kernelINS1_18TensorListMetadataILi2EEENS1_22TernaryOpScalarFunctorIfLi2ELi2ELi0EEEJNS0_11LerpFunctorIfEEfEEEvT_T0_DpT1_
    .private_segment_fixed_size: 0
    .sgpr_count:     32
    .sgpr_spill_count: 0
    .symbol:         _ZN2at6native12_GLOBAL__N_125multi_tensor_apply_kernelINS1_18TensorListMetadataILi2EEENS1_22TernaryOpScalarFunctorIfLi2ELi2ELi0EEEJNS0_11LerpFunctorIfEEfEEEvT_T0_DpT1_.kd
    .uniform_work_group_size: 1
    .uses_dynamic_stack: false
    .vgpr_count:     38
    .vgpr_spill_count: 0
    .wavefront_size: 64
  - .agpr_count:     0
    .args:
      - .offset:         0
        .size:           3144
        .value_kind:     by_value
      - .offset:         3144
        .size:           1
        .value_kind:     by_value
      - .offset:         3145
        .size:           1
        .value_kind:     by_value
      - .offset:         3152
        .size:           16
        .value_kind:     by_value
      - .offset:         3168
        .size:           4
        .value_kind:     hidden_block_count_x
      - .offset:         3172
        .size:           4
        .value_kind:     hidden_block_count_y
      - .offset:         3176
        .size:           4
        .value_kind:     hidden_block_count_z
      - .offset:         3180
        .size:           2
        .value_kind:     hidden_group_size_x
      - .offset:         3182
        .size:           2
        .value_kind:     hidden_group_size_y
      - .offset:         3184
        .size:           2
        .value_kind:     hidden_group_size_z
      - .offset:         3186
        .size:           2
        .value_kind:     hidden_remainder_x
      - .offset:         3188
        .size:           2
        .value_kind:     hidden_remainder_y
      - .offset:         3190
        .size:           2
        .value_kind:     hidden_remainder_z
      - .offset:         3208
        .size:           8
        .value_kind:     hidden_global_offset_x
      - .offset:         3216
        .size:           8
        .value_kind:     hidden_global_offset_y
      - .offset:         3224
        .size:           8
        .value_kind:     hidden_global_offset_z
      - .offset:         3232
        .size:           2
        .value_kind:     hidden_grid_dims
    .group_segment_fixed_size: 0
    .kernarg_segment_align: 16
    .kernarg_segment_size: 3424
    .language:       OpenCL C
    .language_version:
      - 2
      - 0
    .max_flat_workgroup_size: 512
    .name:           _ZN2at6native12_GLOBAL__N_125multi_tensor_apply_kernelINS1_18TensorListMetadataILi2EEENS1_22TernaryOpScalarFunctorIN3c107complexIdEELi2ELi2ELi0EEEJNS0_11LerpFunctorIS8_EES8_EEEvT_T0_DpT1_
    .private_segment_fixed_size: 0
    .sgpr_count:     42
    .sgpr_spill_count: 0
    .symbol:         _ZN2at6native12_GLOBAL__N_125multi_tensor_apply_kernelINS1_18TensorListMetadataILi2EEENS1_22TernaryOpScalarFunctorIN3c107complexIdEELi2ELi2ELi0EEEJNS0_11LerpFunctorIS8_EES8_EEEvT_T0_DpT1_.kd
    .uniform_work_group_size: 1
    .uses_dynamic_stack: false
    .vgpr_count:     54
    .vgpr_spill_count: 0
    .wavefront_size: 64
  - .agpr_count:     0
    .args:
      - .offset:         0
        .size:           3144
        .value_kind:     by_value
      - .offset:         3144
        .size:           1
        .value_kind:     by_value
      - .offset:         3145
        .size:           1
        .value_kind:     by_value
      - .offset:         3152
        .size:           8
        .value_kind:     by_value
      - .offset:         3160
        .size:           4
        .value_kind:     hidden_block_count_x
      - .offset:         3164
        .size:           4
        .value_kind:     hidden_block_count_y
      - .offset:         3168
        .size:           4
        .value_kind:     hidden_block_count_z
      - .offset:         3172
        .size:           2
        .value_kind:     hidden_group_size_x
      - .offset:         3174
        .size:           2
        .value_kind:     hidden_group_size_y
      - .offset:         3176
        .size:           2
        .value_kind:     hidden_group_size_z
      - .offset:         3178
        .size:           2
        .value_kind:     hidden_remainder_x
      - .offset:         3180
        .size:           2
        .value_kind:     hidden_remainder_y
      - .offset:         3182
        .size:           2
        .value_kind:     hidden_remainder_z
      - .offset:         3200
        .size:           8
        .value_kind:     hidden_global_offset_x
      - .offset:         3208
        .size:           8
        .value_kind:     hidden_global_offset_y
      - .offset:         3216
        .size:           8
        .value_kind:     hidden_global_offset_z
      - .offset:         3224
        .size:           2
        .value_kind:     hidden_grid_dims
    .group_segment_fixed_size: 0
    .kernarg_segment_align: 8
    .kernarg_segment_size: 3416
    .language:       OpenCL C
    .language_version:
      - 2
      - 0
    .max_flat_workgroup_size: 512
    .name:           _ZN2at6native12_GLOBAL__N_125multi_tensor_apply_kernelINS1_18TensorListMetadataILi2EEENS1_22TernaryOpScalarFunctorIN3c107complexIfEELi2ELi2ELi0EEEJNS0_11LerpFunctorIS8_EES8_EEEvT_T0_DpT1_
    .private_segment_fixed_size: 0
    .sgpr_count:     36
    .sgpr_spill_count: 0
    .symbol:         _ZN2at6native12_GLOBAL__N_125multi_tensor_apply_kernelINS1_18TensorListMetadataILi2EEENS1_22TernaryOpScalarFunctorIN3c107complexIfEELi2ELi2ELi0EEEJNS0_11LerpFunctorIS8_EES8_EEEvT_T0_DpT1_.kd
    .uniform_work_group_size: 1
    .uses_dynamic_stack: false
    .vgpr_count:     50
    .vgpr_spill_count: 0
    .wavefront_size: 64
  - .agpr_count:     0
    .args:
      - .offset:         0
        .size:           3144
        .value_kind:     by_value
      - .offset:         3144
        .size:           1
        .value_kind:     by_value
      - .offset:         3145
        .size:           1
        .value_kind:     by_value
      - .offset:         3148
        .size:           4
        .value_kind:     by_value
      - .offset:         3152
        .size:           4
        .value_kind:     hidden_block_count_x
      - .offset:         3156
        .size:           4
        .value_kind:     hidden_block_count_y
      - .offset:         3160
        .size:           4
        .value_kind:     hidden_block_count_z
      - .offset:         3164
        .size:           2
        .value_kind:     hidden_group_size_x
      - .offset:         3166
        .size:           2
        .value_kind:     hidden_group_size_y
      - .offset:         3168
        .size:           2
        .value_kind:     hidden_group_size_z
      - .offset:         3170
        .size:           2
        .value_kind:     hidden_remainder_x
      - .offset:         3172
        .size:           2
        .value_kind:     hidden_remainder_y
      - .offset:         3174
        .size:           2
        .value_kind:     hidden_remainder_z
      - .offset:         3192
        .size:           8
        .value_kind:     hidden_global_offset_x
      - .offset:         3200
        .size:           8
        .value_kind:     hidden_global_offset_y
      - .offset:         3208
        .size:           8
        .value_kind:     hidden_global_offset_z
      - .offset:         3216
        .size:           2
        .value_kind:     hidden_grid_dims
    .group_segment_fixed_size: 0
    .kernarg_segment_align: 8
    .kernarg_segment_size: 3408
    .language:       OpenCL C
    .language_version:
      - 2
      - 0
    .max_flat_workgroup_size: 512
    .name:           _ZN2at6native12_GLOBAL__N_125multi_tensor_apply_kernelINS1_18TensorListMetadataILi2EEENS1_22TernaryOpScalarFunctorIN3c104HalfELi2ELi2ELi0EEEJNS0_11LerpFunctorIfEEfEEEvT_T0_DpT1_
    .private_segment_fixed_size: 0
    .sgpr_count:     32
    .sgpr_spill_count: 0
    .symbol:         _ZN2at6native12_GLOBAL__N_125multi_tensor_apply_kernelINS1_18TensorListMetadataILi2EEENS1_22TernaryOpScalarFunctorIN3c104HalfELi2ELi2ELi0EEEJNS0_11LerpFunctorIfEEfEEEvT_T0_DpT1_.kd
    .uniform_work_group_size: 1
    .uses_dynamic_stack: false
    .vgpr_count:     37
    .vgpr_spill_count: 0
    .wavefront_size: 64
  - .agpr_count:     0
    .args:
      - .offset:         0
        .size:           3144
        .value_kind:     by_value
      - .offset:         3144
        .size:           1
        .value_kind:     by_value
      - .offset:         3145
        .size:           1
        .value_kind:     by_value
      - .offset:         3148
        .size:           4
        .value_kind:     by_value
      - .offset:         3152
        .size:           4
        .value_kind:     hidden_block_count_x
      - .offset:         3156
        .size:           4
        .value_kind:     hidden_block_count_y
      - .offset:         3160
        .size:           4
        .value_kind:     hidden_block_count_z
      - .offset:         3164
        .size:           2
        .value_kind:     hidden_group_size_x
      - .offset:         3166
        .size:           2
        .value_kind:     hidden_group_size_y
      - .offset:         3168
        .size:           2
        .value_kind:     hidden_group_size_z
      - .offset:         3170
        .size:           2
        .value_kind:     hidden_remainder_x
      - .offset:         3172
        .size:           2
        .value_kind:     hidden_remainder_y
      - .offset:         3174
        .size:           2
        .value_kind:     hidden_remainder_z
      - .offset:         3192
        .size:           8
        .value_kind:     hidden_global_offset_x
      - .offset:         3200
        .size:           8
        .value_kind:     hidden_global_offset_y
      - .offset:         3208
        .size:           8
        .value_kind:     hidden_global_offset_z
      - .offset:         3216
        .size:           2
        .value_kind:     hidden_grid_dims
    .group_segment_fixed_size: 0
    .kernarg_segment_align: 8
    .kernarg_segment_size: 3408
    .language:       OpenCL C
    .language_version:
      - 2
      - 0
    .max_flat_workgroup_size: 512
    .name:           _ZN2at6native12_GLOBAL__N_125multi_tensor_apply_kernelINS1_18TensorListMetadataILi2EEENS1_22TernaryOpScalarFunctorIN3c108BFloat16ELi2ELi2ELi0EEEJNS0_11LerpFunctorIfEEfEEEvT_T0_DpT1_
    .private_segment_fixed_size: 0
    .sgpr_count:     34
    .sgpr_spill_count: 0
    .symbol:         _ZN2at6native12_GLOBAL__N_125multi_tensor_apply_kernelINS1_18TensorListMetadataILi2EEENS1_22TernaryOpScalarFunctorIN3c108BFloat16ELi2ELi2ELi0EEEJNS0_11LerpFunctorIfEEfEEEvT_T0_DpT1_.kd
    .uniform_work_group_size: 1
    .uses_dynamic_stack: false
    .vgpr_count:     35
    .vgpr_spill_count: 0
    .wavefront_size: 64
  - .agpr_count:     0
    .args:
      - .offset:         0
        .size:           3520
        .value_kind:     by_value
      - .offset:         3520
        .size:           1
        .value_kind:     by_value
      - .offset:         3521
        .size:           1
        .value_kind:     by_value
      - .offset:         3528
        .size:           4
        .value_kind:     hidden_block_count_x
      - .offset:         3532
        .size:           4
        .value_kind:     hidden_block_count_y
      - .offset:         3536
        .size:           4
        .value_kind:     hidden_block_count_z
      - .offset:         3540
        .size:           2
        .value_kind:     hidden_group_size_x
      - .offset:         3542
        .size:           2
        .value_kind:     hidden_group_size_y
      - .offset:         3544
        .size:           2
        .value_kind:     hidden_group_size_z
      - .offset:         3546
        .size:           2
        .value_kind:     hidden_remainder_x
      - .offset:         3548
        .size:           2
        .value_kind:     hidden_remainder_y
      - .offset:         3550
        .size:           2
        .value_kind:     hidden_remainder_z
      - .offset:         3568
        .size:           8
        .value_kind:     hidden_global_offset_x
      - .offset:         3576
        .size:           8
        .value_kind:     hidden_global_offset_y
      - .offset:         3584
        .size:           8
        .value_kind:     hidden_global_offset_z
      - .offset:         3592
        .size:           2
        .value_kind:     hidden_grid_dims
    .group_segment_fixed_size: 0
    .kernarg_segment_align: 8
    .kernarg_segment_size: 3784
    .language:       OpenCL C
    .language_version:
      - 2
      - 0
    .max_flat_workgroup_size: 512
    .name:           _ZN2at6native12_GLOBAL__N_125multi_tensor_apply_kernelINS1_28TensorListScalarListMetadataIdLi3EEENS1_26TernaryOpScalarListFunctorIdLi3ELi2ELi2EEEJNS0_11LerpFunctorIdEEEEEvT_T0_DpT1_
    .private_segment_fixed_size: 0
    .sgpr_count:     37
    .sgpr_spill_count: 0
    .symbol:         _ZN2at6native12_GLOBAL__N_125multi_tensor_apply_kernelINS1_28TensorListScalarListMetadataIdLi3EEENS1_26TernaryOpScalarListFunctorIdLi3ELi2ELi2EEEJNS0_11LerpFunctorIdEEEEEvT_T0_DpT1_.kd
    .uniform_work_group_size: 1
    .uses_dynamic_stack: false
    .vgpr_count:     54
    .vgpr_spill_count: 0
    .wavefront_size: 64
  - .agpr_count:     0
    .args:
      - .offset:         0
        .size:           3328
        .value_kind:     by_value
      - .offset:         3328
        .size:           1
        .value_kind:     by_value
      - .offset:         3329
        .size:           1
        .value_kind:     by_value
      - .offset:         3336
        .size:           4
        .value_kind:     hidden_block_count_x
      - .offset:         3340
        .size:           4
        .value_kind:     hidden_block_count_y
      - .offset:         3344
        .size:           4
        .value_kind:     hidden_block_count_z
      - .offset:         3348
        .size:           2
        .value_kind:     hidden_group_size_x
      - .offset:         3350
        .size:           2
        .value_kind:     hidden_group_size_y
      - .offset:         3352
        .size:           2
        .value_kind:     hidden_group_size_z
      - .offset:         3354
        .size:           2
        .value_kind:     hidden_remainder_x
      - .offset:         3356
        .size:           2
        .value_kind:     hidden_remainder_y
      - .offset:         3358
        .size:           2
        .value_kind:     hidden_remainder_z
      - .offset:         3376
        .size:           8
        .value_kind:     hidden_global_offset_x
      - .offset:         3384
        .size:           8
        .value_kind:     hidden_global_offset_y
      - .offset:         3392
        .size:           8
        .value_kind:     hidden_global_offset_z
      - .offset:         3400
        .size:           2
        .value_kind:     hidden_grid_dims
    .group_segment_fixed_size: 0
    .kernarg_segment_align: 8
    .kernarg_segment_size: 3592
    .language:       OpenCL C
    .language_version:
      - 2
      - 0
    .max_flat_workgroup_size: 512
    .name:           _ZN2at6native12_GLOBAL__N_125multi_tensor_apply_kernelINS1_28TensorListScalarListMetadataIfLi3EEENS1_26TernaryOpScalarListFunctorIfLi3ELi2ELi2EEEJNS0_11LerpFunctorIfEEEEEvT_T0_DpT1_
    .private_segment_fixed_size: 0
    .sgpr_count:     36
    .sgpr_spill_count: 0
    .symbol:         _ZN2at6native12_GLOBAL__N_125multi_tensor_apply_kernelINS1_28TensorListScalarListMetadataIfLi3EEENS1_26TernaryOpScalarListFunctorIfLi3ELi2ELi2EEEJNS0_11LerpFunctorIfEEEEEvT_T0_DpT1_.kd
    .uniform_work_group_size: 1
    .uses_dynamic_stack: false
    .vgpr_count:     46
    .vgpr_spill_count: 0
    .wavefront_size: 64
  - .agpr_count:     0
    .args:
      - .offset:         0
        .size:           3904
        .value_kind:     by_value
      - .offset:         3904
        .size:           1
        .value_kind:     by_value
      - .offset:         3905
        .size:           1
        .value_kind:     by_value
      - .offset:         3912
        .size:           4
        .value_kind:     hidden_block_count_x
      - .offset:         3916
        .size:           4
        .value_kind:     hidden_block_count_y
      - .offset:         3920
        .size:           4
        .value_kind:     hidden_block_count_z
      - .offset:         3924
        .size:           2
        .value_kind:     hidden_group_size_x
      - .offset:         3926
        .size:           2
        .value_kind:     hidden_group_size_y
      - .offset:         3928
        .size:           2
        .value_kind:     hidden_group_size_z
      - .offset:         3930
        .size:           2
        .value_kind:     hidden_remainder_x
      - .offset:         3932
        .size:           2
        .value_kind:     hidden_remainder_y
      - .offset:         3934
        .size:           2
        .value_kind:     hidden_remainder_z
      - .offset:         3952
        .size:           8
        .value_kind:     hidden_global_offset_x
      - .offset:         3960
        .size:           8
        .value_kind:     hidden_global_offset_y
      - .offset:         3968
        .size:           8
        .value_kind:     hidden_global_offset_z
      - .offset:         3976
        .size:           2
        .value_kind:     hidden_grid_dims
    .group_segment_fixed_size: 0
    .kernarg_segment_align: 16
    .kernarg_segment_size: 4168
    .language:       OpenCL C
    .language_version:
      - 2
      - 0
    .max_flat_workgroup_size: 512
    .name:           _ZN2at6native12_GLOBAL__N_125multi_tensor_apply_kernelINS1_28TensorListScalarListMetadataIN3c107complexIdEELi3EEENS1_26TernaryOpScalarListFunctorIS6_Li3ELi2ELi2EEEJNS0_11LerpFunctorIS6_EEEEEvT_T0_DpT1_
    .private_segment_fixed_size: 0
    .sgpr_count:     44
    .sgpr_spill_count: 0
    .symbol:         _ZN2at6native12_GLOBAL__N_125multi_tensor_apply_kernelINS1_28TensorListScalarListMetadataIN3c107complexIdEELi3EEENS1_26TernaryOpScalarListFunctorIS6_Li3ELi2ELi2EEEJNS0_11LerpFunctorIS6_EEEEEvT_T0_DpT1_.kd
    .uniform_work_group_size: 1
    .uses_dynamic_stack: false
    .vgpr_count:     54
    .vgpr_spill_count: 0
    .wavefront_size: 64
  - .agpr_count:     0
    .args:
      - .offset:         0
        .size:           3520
        .value_kind:     by_value
      - .offset:         3520
        .size:           1
        .value_kind:     by_value
      - .offset:         3521
        .size:           1
        .value_kind:     by_value
      - .offset:         3528
        .size:           4
        .value_kind:     hidden_block_count_x
      - .offset:         3532
        .size:           4
        .value_kind:     hidden_block_count_y
      - .offset:         3536
        .size:           4
        .value_kind:     hidden_block_count_z
      - .offset:         3540
        .size:           2
        .value_kind:     hidden_group_size_x
      - .offset:         3542
        .size:           2
        .value_kind:     hidden_group_size_y
      - .offset:         3544
        .size:           2
        .value_kind:     hidden_group_size_z
      - .offset:         3546
        .size:           2
        .value_kind:     hidden_remainder_x
      - .offset:         3548
        .size:           2
        .value_kind:     hidden_remainder_y
      - .offset:         3550
        .size:           2
        .value_kind:     hidden_remainder_z
      - .offset:         3568
        .size:           8
        .value_kind:     hidden_global_offset_x
      - .offset:         3576
        .size:           8
        .value_kind:     hidden_global_offset_y
      - .offset:         3584
        .size:           8
        .value_kind:     hidden_global_offset_z
      - .offset:         3592
        .size:           2
        .value_kind:     hidden_grid_dims
    .group_segment_fixed_size: 0
    .kernarg_segment_align: 8
    .kernarg_segment_size: 3784
    .language:       OpenCL C
    .language_version:
      - 2
      - 0
    .max_flat_workgroup_size: 512
    .name:           _ZN2at6native12_GLOBAL__N_125multi_tensor_apply_kernelINS1_28TensorListScalarListMetadataIN3c107complexIfEELi3EEENS1_26TernaryOpScalarListFunctorIS6_Li3ELi2ELi2EEEJNS0_11LerpFunctorIS6_EEEEEvT_T0_DpT1_
    .private_segment_fixed_size: 0
    .sgpr_count:     44
    .sgpr_spill_count: 0
    .symbol:         _ZN2at6native12_GLOBAL__N_125multi_tensor_apply_kernelINS1_28TensorListScalarListMetadataIN3c107complexIfEELi3EEENS1_26TernaryOpScalarListFunctorIS6_Li3ELi2ELi2EEEJNS0_11LerpFunctorIS6_EEEEEvT_T0_DpT1_.kd
    .uniform_work_group_size: 1
    .uses_dynamic_stack: false
    .vgpr_count:     58
    .vgpr_spill_count: 0
    .wavefront_size: 64
  - .agpr_count:     0
    .args:
      - .offset:         0
        .size:           3328
        .value_kind:     by_value
      - .offset:         3328
        .size:           1
        .value_kind:     by_value
      - .offset:         3329
        .size:           1
        .value_kind:     by_value
      - .offset:         3336
        .size:           4
        .value_kind:     hidden_block_count_x
      - .offset:         3340
        .size:           4
        .value_kind:     hidden_block_count_y
      - .offset:         3344
        .size:           4
        .value_kind:     hidden_block_count_z
      - .offset:         3348
        .size:           2
        .value_kind:     hidden_group_size_x
      - .offset:         3350
        .size:           2
        .value_kind:     hidden_group_size_y
      - .offset:         3352
        .size:           2
        .value_kind:     hidden_group_size_z
      - .offset:         3354
        .size:           2
        .value_kind:     hidden_remainder_x
      - .offset:         3356
        .size:           2
        .value_kind:     hidden_remainder_y
      - .offset:         3358
        .size:           2
        .value_kind:     hidden_remainder_z
      - .offset:         3376
        .size:           8
        .value_kind:     hidden_global_offset_x
      - .offset:         3384
        .size:           8
        .value_kind:     hidden_global_offset_y
      - .offset:         3392
        .size:           8
        .value_kind:     hidden_global_offset_z
      - .offset:         3400
        .size:           2
        .value_kind:     hidden_grid_dims
    .group_segment_fixed_size: 0
    .kernarg_segment_align: 8
    .kernarg_segment_size: 3592
    .language:       OpenCL C
    .language_version:
      - 2
      - 0
    .max_flat_workgroup_size: 512
    .name:           _ZN2at6native12_GLOBAL__N_125multi_tensor_apply_kernelINS1_28TensorListScalarListMetadataIfLi3EEENS1_26TernaryOpScalarListFunctorIN3c104HalfELi3ELi2ELi2EEEJNS0_11LerpFunctorIfEEEEEvT_T0_DpT1_
    .private_segment_fixed_size: 0
    .sgpr_count:     34
    .sgpr_spill_count: 0
    .symbol:         _ZN2at6native12_GLOBAL__N_125multi_tensor_apply_kernelINS1_28TensorListScalarListMetadataIfLi3EEENS1_26TernaryOpScalarListFunctorIN3c104HalfELi3ELi2ELi2EEEJNS0_11LerpFunctorIfEEEEEvT_T0_DpT1_.kd
    .uniform_work_group_size: 1
    .uses_dynamic_stack: false
    .vgpr_count:     45
    .vgpr_spill_count: 0
    .wavefront_size: 64
  - .agpr_count:     0
    .args:
      - .offset:         0
        .size:           3328
        .value_kind:     by_value
      - .offset:         3328
        .size:           1
        .value_kind:     by_value
      - .offset:         3329
        .size:           1
        .value_kind:     by_value
      - .offset:         3336
        .size:           4
        .value_kind:     hidden_block_count_x
      - .offset:         3340
        .size:           4
        .value_kind:     hidden_block_count_y
      - .offset:         3344
        .size:           4
        .value_kind:     hidden_block_count_z
      - .offset:         3348
        .size:           2
        .value_kind:     hidden_group_size_x
      - .offset:         3350
        .size:           2
        .value_kind:     hidden_group_size_y
      - .offset:         3352
        .size:           2
        .value_kind:     hidden_group_size_z
      - .offset:         3354
        .size:           2
        .value_kind:     hidden_remainder_x
      - .offset:         3356
        .size:           2
        .value_kind:     hidden_remainder_y
      - .offset:         3358
        .size:           2
        .value_kind:     hidden_remainder_z
      - .offset:         3376
        .size:           8
        .value_kind:     hidden_global_offset_x
      - .offset:         3384
        .size:           8
        .value_kind:     hidden_global_offset_y
      - .offset:         3392
        .size:           8
        .value_kind:     hidden_global_offset_z
      - .offset:         3400
        .size:           2
        .value_kind:     hidden_grid_dims
    .group_segment_fixed_size: 0
    .kernarg_segment_align: 8
    .kernarg_segment_size: 3592
    .language:       OpenCL C
    .language_version:
      - 2
      - 0
    .max_flat_workgroup_size: 512
    .name:           _ZN2at6native12_GLOBAL__N_125multi_tensor_apply_kernelINS1_28TensorListScalarListMetadataIfLi3EEENS1_26TernaryOpScalarListFunctorIN3c108BFloat16ELi3ELi2ELi2EEEJNS0_11LerpFunctorIfEEEEEvT_T0_DpT1_
    .private_segment_fixed_size: 0
    .sgpr_count:     36
    .sgpr_spill_count: 0
    .symbol:         _ZN2at6native12_GLOBAL__N_125multi_tensor_apply_kernelINS1_28TensorListScalarListMetadataIfLi3EEENS1_26TernaryOpScalarListFunctorIN3c108BFloat16ELi3ELi2ELi2EEEJNS0_11LerpFunctorIfEEEEEvT_T0_DpT1_.kd
    .uniform_work_group_size: 1
    .uses_dynamic_stack: false
    .vgpr_count:     43
    .vgpr_spill_count: 0
    .wavefront_size: 64
  - .agpr_count:     0
    .args:
      - .offset:         0
        .size:           3648
        .value_kind:     by_value
      - .offset:         3648
        .size:           1
        .value_kind:     by_value
      - .offset:         3649
        .size:           1
        .value_kind:     by_value
      - .offset:         3656
        .size:           4
        .value_kind:     hidden_block_count_x
      - .offset:         3660
        .size:           4
        .value_kind:     hidden_block_count_y
      - .offset:         3664
        .size:           4
        .value_kind:     hidden_block_count_z
      - .offset:         3668
        .size:           2
        .value_kind:     hidden_group_size_x
      - .offset:         3670
        .size:           2
        .value_kind:     hidden_group_size_y
      - .offset:         3672
        .size:           2
        .value_kind:     hidden_group_size_z
      - .offset:         3674
        .size:           2
        .value_kind:     hidden_remainder_x
      - .offset:         3676
        .size:           2
        .value_kind:     hidden_remainder_y
      - .offset:         3678
        .size:           2
        .value_kind:     hidden_remainder_z
      - .offset:         3696
        .size:           8
        .value_kind:     hidden_global_offset_x
      - .offset:         3704
        .size:           8
        .value_kind:     hidden_global_offset_y
      - .offset:         3712
        .size:           8
        .value_kind:     hidden_global_offset_z
      - .offset:         3720
        .size:           2
        .value_kind:     hidden_grid_dims
    .group_segment_fixed_size: 0
    .kernarg_segment_align: 8
    .kernarg_segment_size: 3912
    .language:       OpenCL C
    .language_version:
      - 2
      - 0
    .max_flat_workgroup_size: 512
    .name:           _ZN2at6native12_GLOBAL__N_125multi_tensor_apply_kernelINS1_28TensorListScalarListMetadataIdLi2EEENS1_26TernaryOpScalarListFunctorIdLi2ELi2ELi0EEEJNS0_11LerpFunctorIdEEEEEvT_T0_DpT1_
    .private_segment_fixed_size: 0
    .sgpr_count:     32
    .sgpr_spill_count: 0
    .symbol:         _ZN2at6native12_GLOBAL__N_125multi_tensor_apply_kernelINS1_28TensorListScalarListMetadataIdLi2EEENS1_26TernaryOpScalarListFunctorIdLi2ELi2ELi0EEEJNS0_11LerpFunctorIdEEEEEvT_T0_DpT1_.kd
    .uniform_work_group_size: 1
    .uses_dynamic_stack: false
    .vgpr_count:     46
    .vgpr_spill_count: 0
    .wavefront_size: 64
  - .agpr_count:     0
    .args:
      - .offset:         0
        .size:           3392
        .value_kind:     by_value
      - .offset:         3392
        .size:           1
        .value_kind:     by_value
      - .offset:         3393
        .size:           1
        .value_kind:     by_value
      - .offset:         3400
        .size:           4
        .value_kind:     hidden_block_count_x
      - .offset:         3404
        .size:           4
        .value_kind:     hidden_block_count_y
      - .offset:         3408
        .size:           4
        .value_kind:     hidden_block_count_z
      - .offset:         3412
        .size:           2
        .value_kind:     hidden_group_size_x
      - .offset:         3414
        .size:           2
        .value_kind:     hidden_group_size_y
      - .offset:         3416
        .size:           2
        .value_kind:     hidden_group_size_z
      - .offset:         3418
        .size:           2
        .value_kind:     hidden_remainder_x
      - .offset:         3420
        .size:           2
        .value_kind:     hidden_remainder_y
      - .offset:         3422
        .size:           2
        .value_kind:     hidden_remainder_z
      - .offset:         3440
        .size:           8
        .value_kind:     hidden_global_offset_x
      - .offset:         3448
        .size:           8
        .value_kind:     hidden_global_offset_y
      - .offset:         3456
        .size:           8
        .value_kind:     hidden_global_offset_z
      - .offset:         3464
        .size:           2
        .value_kind:     hidden_grid_dims
    .group_segment_fixed_size: 0
    .kernarg_segment_align: 8
    .kernarg_segment_size: 3656
    .language:       OpenCL C
    .language_version:
      - 2
      - 0
    .max_flat_workgroup_size: 512
    .name:           _ZN2at6native12_GLOBAL__N_125multi_tensor_apply_kernelINS1_28TensorListScalarListMetadataIfLi2EEENS1_26TernaryOpScalarListFunctorIfLi2ELi2ELi0EEEJNS0_11LerpFunctorIfEEEEEvT_T0_DpT1_
    .private_segment_fixed_size: 0
    .sgpr_count:     32
    .sgpr_spill_count: 0
    .symbol:         _ZN2at6native12_GLOBAL__N_125multi_tensor_apply_kernelINS1_28TensorListScalarListMetadataIfLi2EEENS1_26TernaryOpScalarListFunctorIfLi2ELi2ELi0EEEJNS0_11LerpFunctorIfEEEEEvT_T0_DpT1_.kd
    .uniform_work_group_size: 1
    .uses_dynamic_stack: false
    .vgpr_count:     38
    .vgpr_spill_count: 0
    .wavefront_size: 64
  - .agpr_count:     0
    .args:
      - .offset:         0
        .size:           4000
        .value_kind:     by_value
      - .offset:         4000
        .size:           1
        .value_kind:     by_value
      - .offset:         4001
        .size:           1
        .value_kind:     by_value
      - .offset:         4008
        .size:           4
        .value_kind:     hidden_block_count_x
      - .offset:         4012
        .size:           4
        .value_kind:     hidden_block_count_y
      - .offset:         4016
        .size:           4
        .value_kind:     hidden_block_count_z
      - .offset:         4020
        .size:           2
        .value_kind:     hidden_group_size_x
      - .offset:         4022
        .size:           2
        .value_kind:     hidden_group_size_y
      - .offset:         4024
        .size:           2
        .value_kind:     hidden_group_size_z
      - .offset:         4026
        .size:           2
        .value_kind:     hidden_remainder_x
      - .offset:         4028
        .size:           2
        .value_kind:     hidden_remainder_y
      - .offset:         4030
        .size:           2
        .value_kind:     hidden_remainder_z
      - .offset:         4048
        .size:           8
        .value_kind:     hidden_global_offset_x
      - .offset:         4056
        .size:           8
        .value_kind:     hidden_global_offset_y
      - .offset:         4064
        .size:           8
        .value_kind:     hidden_global_offset_z
      - .offset:         4072
        .size:           2
        .value_kind:     hidden_grid_dims
    .group_segment_fixed_size: 0
    .kernarg_segment_align: 16
    .kernarg_segment_size: 4264
    .language:       OpenCL C
    .language_version:
      - 2
      - 0
    .max_flat_workgroup_size: 512
    .name:           _ZN2at6native12_GLOBAL__N_125multi_tensor_apply_kernelINS1_28TensorListScalarListMetadataIN3c107complexIdEELi2EEENS1_26TernaryOpScalarListFunctorIS6_Li2ELi2ELi0EEEJNS0_11LerpFunctorIS6_EEEEEvT_T0_DpT1_
    .private_segment_fixed_size: 0
    .sgpr_count:     42
    .sgpr_spill_count: 0
    .symbol:         _ZN2at6native12_GLOBAL__N_125multi_tensor_apply_kernelINS1_28TensorListScalarListMetadataIN3c107complexIdEELi2EEENS1_26TernaryOpScalarListFunctorIS6_Li2ELi2ELi0EEEJNS0_11LerpFunctorIS6_EEEEEvT_T0_DpT1_.kd
    .uniform_work_group_size: 1
    .uses_dynamic_stack: false
    .vgpr_count:     54
    .vgpr_spill_count: 0
    .wavefront_size: 64
  - .agpr_count:     0
    .args:
      - .offset:         0
        .size:           3648
        .value_kind:     by_value
      - .offset:         3648
        .size:           1
        .value_kind:     by_value
      - .offset:         3649
        .size:           1
        .value_kind:     by_value
      - .offset:         3656
        .size:           4
        .value_kind:     hidden_block_count_x
      - .offset:         3660
        .size:           4
        .value_kind:     hidden_block_count_y
      - .offset:         3664
        .size:           4
        .value_kind:     hidden_block_count_z
      - .offset:         3668
        .size:           2
        .value_kind:     hidden_group_size_x
      - .offset:         3670
        .size:           2
        .value_kind:     hidden_group_size_y
      - .offset:         3672
        .size:           2
        .value_kind:     hidden_group_size_z
      - .offset:         3674
        .size:           2
        .value_kind:     hidden_remainder_x
      - .offset:         3676
        .size:           2
        .value_kind:     hidden_remainder_y
      - .offset:         3678
        .size:           2
        .value_kind:     hidden_remainder_z
      - .offset:         3696
        .size:           8
        .value_kind:     hidden_global_offset_x
      - .offset:         3704
        .size:           8
        .value_kind:     hidden_global_offset_y
      - .offset:         3712
        .size:           8
        .value_kind:     hidden_global_offset_z
      - .offset:         3720
        .size:           2
        .value_kind:     hidden_grid_dims
    .group_segment_fixed_size: 0
    .kernarg_segment_align: 8
    .kernarg_segment_size: 3912
    .language:       OpenCL C
    .language_version:
      - 2
      - 0
    .max_flat_workgroup_size: 512
    .name:           _ZN2at6native12_GLOBAL__N_125multi_tensor_apply_kernelINS1_28TensorListScalarListMetadataIN3c107complexIfEELi2EEENS1_26TernaryOpScalarListFunctorIS6_Li2ELi2ELi0EEEJNS0_11LerpFunctorIS6_EEEEEvT_T0_DpT1_
    .private_segment_fixed_size: 0
    .sgpr_count:     36
    .sgpr_spill_count: 0
    .symbol:         _ZN2at6native12_GLOBAL__N_125multi_tensor_apply_kernelINS1_28TensorListScalarListMetadataIN3c107complexIfEELi2EEENS1_26TernaryOpScalarListFunctorIS6_Li2ELi2ELi0EEEJNS0_11LerpFunctorIS6_EEEEEvT_T0_DpT1_.kd
    .uniform_work_group_size: 1
    .uses_dynamic_stack: false
    .vgpr_count:     50
    .vgpr_spill_count: 0
    .wavefront_size: 64
  - .agpr_count:     0
    .args:
      - .offset:         0
        .size:           3392
        .value_kind:     by_value
      - .offset:         3392
        .size:           1
        .value_kind:     by_value
      - .offset:         3393
        .size:           1
        .value_kind:     by_value
      - .offset:         3400
        .size:           4
        .value_kind:     hidden_block_count_x
      - .offset:         3404
        .size:           4
        .value_kind:     hidden_block_count_y
      - .offset:         3408
        .size:           4
        .value_kind:     hidden_block_count_z
      - .offset:         3412
        .size:           2
        .value_kind:     hidden_group_size_x
      - .offset:         3414
        .size:           2
        .value_kind:     hidden_group_size_y
      - .offset:         3416
        .size:           2
        .value_kind:     hidden_group_size_z
      - .offset:         3418
        .size:           2
        .value_kind:     hidden_remainder_x
      - .offset:         3420
        .size:           2
        .value_kind:     hidden_remainder_y
      - .offset:         3422
        .size:           2
        .value_kind:     hidden_remainder_z
      - .offset:         3440
        .size:           8
        .value_kind:     hidden_global_offset_x
      - .offset:         3448
        .size:           8
        .value_kind:     hidden_global_offset_y
      - .offset:         3456
        .size:           8
        .value_kind:     hidden_global_offset_z
      - .offset:         3464
        .size:           2
        .value_kind:     hidden_grid_dims
    .group_segment_fixed_size: 0
    .kernarg_segment_align: 8
    .kernarg_segment_size: 3656
    .language:       OpenCL C
    .language_version:
      - 2
      - 0
    .max_flat_workgroup_size: 512
    .name:           _ZN2at6native12_GLOBAL__N_125multi_tensor_apply_kernelINS1_28TensorListScalarListMetadataIfLi2EEENS1_26TernaryOpScalarListFunctorIN3c104HalfELi2ELi2ELi0EEEJNS0_11LerpFunctorIfEEEEEvT_T0_DpT1_
    .private_segment_fixed_size: 0
    .sgpr_count:     32
    .sgpr_spill_count: 0
    .symbol:         _ZN2at6native12_GLOBAL__N_125multi_tensor_apply_kernelINS1_28TensorListScalarListMetadataIfLi2EEENS1_26TernaryOpScalarListFunctorIN3c104HalfELi2ELi2ELi0EEEJNS0_11LerpFunctorIfEEEEEvT_T0_DpT1_.kd
    .uniform_work_group_size: 1
    .uses_dynamic_stack: false
    .vgpr_count:     37
    .vgpr_spill_count: 0
    .wavefront_size: 64
  - .agpr_count:     0
    .args:
      - .offset:         0
        .size:           3392
        .value_kind:     by_value
      - .offset:         3392
        .size:           1
        .value_kind:     by_value
      - .offset:         3393
        .size:           1
        .value_kind:     by_value
      - .offset:         3400
        .size:           4
        .value_kind:     hidden_block_count_x
      - .offset:         3404
        .size:           4
        .value_kind:     hidden_block_count_y
      - .offset:         3408
        .size:           4
        .value_kind:     hidden_block_count_z
      - .offset:         3412
        .size:           2
        .value_kind:     hidden_group_size_x
      - .offset:         3414
        .size:           2
        .value_kind:     hidden_group_size_y
      - .offset:         3416
        .size:           2
        .value_kind:     hidden_group_size_z
      - .offset:         3418
        .size:           2
        .value_kind:     hidden_remainder_x
      - .offset:         3420
        .size:           2
        .value_kind:     hidden_remainder_y
      - .offset:         3422
        .size:           2
        .value_kind:     hidden_remainder_z
      - .offset:         3440
        .size:           8
        .value_kind:     hidden_global_offset_x
      - .offset:         3448
        .size:           8
        .value_kind:     hidden_global_offset_y
      - .offset:         3456
        .size:           8
        .value_kind:     hidden_global_offset_z
      - .offset:         3464
        .size:           2
        .value_kind:     hidden_grid_dims
    .group_segment_fixed_size: 0
    .kernarg_segment_align: 8
    .kernarg_segment_size: 3656
    .language:       OpenCL C
    .language_version:
      - 2
      - 0
    .max_flat_workgroup_size: 512
    .name:           _ZN2at6native12_GLOBAL__N_125multi_tensor_apply_kernelINS1_28TensorListScalarListMetadataIfLi2EEENS1_26TernaryOpScalarListFunctorIN3c108BFloat16ELi2ELi2ELi0EEEJNS0_11LerpFunctorIfEEEEEvT_T0_DpT1_
    .private_segment_fixed_size: 0
    .sgpr_count:     34
    .sgpr_spill_count: 0
    .symbol:         _ZN2at6native12_GLOBAL__N_125multi_tensor_apply_kernelINS1_28TensorListScalarListMetadataIfLi2EEENS1_26TernaryOpScalarListFunctorIN3c108BFloat16ELi2ELi2ELi0EEEJNS0_11LerpFunctorIfEEEEEvT_T0_DpT1_.kd
    .uniform_work_group_size: 1
    .uses_dynamic_stack: false
    .vgpr_count:     35
    .vgpr_spill_count: 0
    .wavefront_size: 64
amdhsa.target:   amdgcn-amd-amdhsa--gfx950
amdhsa.version:
  - 1
  - 2
...

	.end_amdgpu_metadata
